;; amdgpu-corpus repo=ROCm/rocFFT kind=compiled arch=gfx950 opt=O3
	.text
	.amdgcn_target "amdgcn-amd-amdhsa--gfx950"
	.amdhsa_code_object_version 6
	.protected	bluestein_single_back_len637_dim1_sp_op_CI_CI ; -- Begin function bluestein_single_back_len637_dim1_sp_op_CI_CI
	.globl	bluestein_single_back_len637_dim1_sp_op_CI_CI
	.p2align	8
	.type	bluestein_single_back_len637_dim1_sp_op_CI_CI,@function
bluestein_single_back_len637_dim1_sp_op_CI_CI: ; @bluestein_single_back_len637_dim1_sp_op_CI_CI
; %bb.0:
	s_load_dwordx4 s[8:11], s[0:1], 0x28
	v_mul_u32_u24_e32 v1, 0x2d1, v0
	v_add_u32_sdwa v50, s2, v1 dst_sel:DWORD dst_unused:UNUSED_PAD src0_sel:DWORD src1_sel:WORD_1
	v_mov_b32_e32 v51, 0
	s_waitcnt lgkmcnt(0)
	v_cmp_gt_u64_e32 vcc, s[8:9], v[50:51]
	s_and_saveexec_b64 s[2:3], vcc
	s_cbranch_execz .LBB0_15
; %bb.1:
	s_load_dwordx2 s[8:9], s[0:1], 0x0
	s_load_dwordx2 s[12:13], s[0:1], 0x38
	s_movk_i32 s2, 0x5b
	v_mul_lo_u16_sdwa v1, v1, s2 dst_sel:DWORD dst_unused:UNUSED_PAD src0_sel:WORD_1 src1_sel:DWORD
	v_sub_u16_e32 v51, v0, v1
	v_cmp_gt_u16_e64 s[2:3], 49, v51
	v_lshlrev_b32_e32 v48, 3, v51
	s_and_saveexec_b64 s[14:15], s[2:3]
	s_cbranch_execz .LBB0_3
; %bb.2:
	s_load_dwordx2 s[4:5], s[0:1], 0x18
	v_mov_b32_e32 v0, s10
	v_mov_b32_e32 v1, s11
	;; [unrolled: 1-line block ×3, first 2 shown]
	s_waitcnt lgkmcnt(0)
	s_load_dwordx4 s[4:7], s[4:5], 0x0
	s_waitcnt lgkmcnt(0)
	v_mad_u64_u32 v[2:3], s[10:11], s6, v50, 0
	v_mad_u64_u32 v[4:5], s[10:11], s4, v51, 0
	v_mov_b32_e32 v6, v3
	v_mov_b32_e32 v8, v5
	v_mad_u64_u32 v[6:7], s[6:7], s7, v50, v[6:7]
	v_mov_b32_e32 v3, v6
	v_mad_u64_u32 v[6:7], s[6:7], s5, v51, v[8:9]
	v_mov_b32_e32 v5, v6
	v_lshl_add_u64 v[0:1], v[2:3], 3, v[0:1]
	v_lshl_add_u64 v[0:1], v[4:5], 3, v[0:1]
	;; [unrolled: 1-line block ×3, first 2 shown]
	v_mov_b32_e32 v49, 0x188
	global_load_dwordx2 v[2:3], v[0:1], off
	v_mad_u64_u32 v[0:1], s[6:7], s4, v49, v[0:1]
	s_mul_i32 s10, s5, 0x188
	v_add_u32_e32 v1, s10, v1
	v_mad_u64_u32 v[10:11], s[6:7], s4, v49, v[0:1]
	v_add_u32_e32 v11, s10, v11
	v_mad_u64_u32 v[12:13], s[6:7], s4, v49, v[10:11]
	v_add_u32_e32 v13, s10, v13
	v_mad_u64_u32 v[14:15], s[6:7], s4, v49, v[12:13]
	v_add_u32_e32 v15, s10, v15
	global_load_dwordx2 v[6:7], v48, s[8:9]
	global_load_dwordx2 v[8:9], v48, s[8:9] offset:392
	global_load_dwordx2 v[16:17], v[0:1], off
	global_load_dwordx2 v[18:19], v[10:11], off
	;; [unrolled: 1-line block ×4, first 2 shown]
	global_load_dwordx2 v[24:25], v48, s[8:9] offset:784
	v_mad_u64_u32 v[0:1], s[6:7], s4, v49, v[14:15]
	v_add_u32_e32 v1, s10, v1
	global_load_dwordx2 v[10:11], v[0:1], off
	global_load_dwordx2 v[12:13], v48, s[8:9] offset:1176
	global_load_dwordx2 v[14:15], v48, s[8:9] offset:1568
	;; [unrolled: 1-line block ×3, first 2 shown]
	v_mad_u64_u32 v[0:1], s[6:7], s4, v49, v[0:1]
	v_add_u32_e32 v1, s10, v1
	global_load_dwordx2 v[28:29], v[0:1], off
	v_mad_u64_u32 v[0:1], s[6:7], s4, v49, v[0:1]
	v_add_u32_e32 v1, s10, v1
	global_load_dwordx2 v[30:31], v[0:1], off
	v_mad_u64_u32 v[0:1], s[6:7], s4, v49, v[0:1]
	v_add_u32_e32 v1, s10, v1
	global_load_dwordx2 v[32:33], v48, s[8:9] offset:2352
	global_load_dwordx2 v[34:35], v[0:1], off
	v_mad_u64_u32 v[0:1], s[6:7], s4, v49, v[0:1]
	v_add_u32_e32 v1, s10, v1
	global_load_dwordx2 v[36:37], v48, s[8:9] offset:2744
	global_load_dwordx2 v[38:39], v[0:1], off
	global_load_dwordx2 v[40:41], v48, s[8:9] offset:3136
	global_load_dwordx2 v[42:43], v48, s[8:9] offset:3528
	v_mad_u64_u32 v[0:1], s[6:7], s4, v49, v[0:1]
	v_add_u32_e32 v1, s10, v1
	s_movk_i32 s5, 0x1000
	global_load_dwordx2 v[44:45], v[0:1], off
	global_load_dwordx2 v[46:47], v48, s[8:9] offset:3920
	v_mad_u64_u32 v[0:1], s[6:7], s4, v49, v[0:1]
	v_add_co_u32_e32 v4, vcc, s5, v4
	v_add_u32_e32 v1, s10, v1
	s_nop 0
	v_addc_co_u32_e32 v5, vcc, 0, v5, vcc
	global_load_dwordx2 v[52:53], v[0:1], off
	global_load_dwordx2 v[54:55], v[4:5], off offset:216
	v_mad_u64_u32 v[0:1], s[4:5], s4, v49, v[0:1]
	v_add_u32_e32 v1, s10, v1
	global_load_dwordx2 v[56:57], v[4:5], off offset:608
	global_load_dwordx2 v[58:59], v[0:1], off
	v_add_u32_e32 v4, 0x800, v48
	s_waitcnt vmcnt(24)
	v_mul_f32_e32 v0, v3, v7
	v_mul_f32_e32 v1, v2, v7
	v_fmac_f32_e32 v0, v2, v6
	v_fma_f32 v1, v3, v6, -v1
	s_waitcnt vmcnt(22)
	v_mul_f32_e32 v2, v17, v9
	v_mul_f32_e32 v3, v16, v9
	v_fmac_f32_e32 v2, v16, v8
	v_fma_f32 v3, v17, v8, -v3
	ds_write2_b64 v48, v[0:1], v[2:3] offset1:49
	s_waitcnt vmcnt(18)
	v_mul_f32_e32 v0, v19, v25
	v_mul_f32_e32 v1, v18, v25
	s_waitcnt vmcnt(16)
	v_mul_f32_e32 v2, v21, v13
	v_mul_f32_e32 v3, v20, v13
	v_fmac_f32_e32 v0, v18, v24
	v_fma_f32 v1, v19, v24, -v1
	v_fmac_f32_e32 v2, v20, v12
	v_fma_f32 v3, v21, v12, -v3
	ds_write2_b64 v48, v[0:1], v[2:3] offset0:98 offset1:147
	s_waitcnt vmcnt(15)
	v_mul_f32_e32 v0, v23, v15
	v_mul_f32_e32 v1, v22, v15
	s_waitcnt vmcnt(14)
	v_mul_f32_e32 v2, v11, v27
	v_mul_f32_e32 v3, v10, v27
	v_fmac_f32_e32 v0, v22, v14
	v_fma_f32 v1, v23, v14, -v1
	v_fmac_f32_e32 v2, v10, v26
	v_fma_f32 v3, v11, v26, -v3
	ds_write2_b64 v48, v[0:1], v[2:3] offset0:196 offset1:245
	;; [unrolled: 11-line block ×4, first 2 shown]
	s_waitcnt vmcnt(4)
	v_mul_f32_e32 v0, v45, v47
	v_mul_f32_e32 v1, v44, v47
	s_waitcnt vmcnt(2)
	v_mul_f32_e32 v2, v53, v55
	v_mul_f32_e32 v3, v52, v55
	v_fmac_f32_e32 v0, v44, v46
	v_fma_f32 v1, v45, v46, -v1
	v_fmac_f32_e32 v2, v52, v54
	v_fma_f32 v3, v53, v54, -v3
	v_add_u32_e32 v4, 0xc00, v48
	ds_write2_b64 v4, v[0:1], v[2:3] offset0:106 offset1:155
	s_waitcnt vmcnt(0)
	v_mul_f32_e32 v0, v59, v57
	v_mul_f32_e32 v1, v58, v57
	v_fmac_f32_e32 v0, v58, v56
	v_fma_f32 v1, v59, v56, -v1
	ds_write_b64 v48, v[0:1] offset:4704
.LBB0_3:
	s_or_b64 exec, exec, s[14:15]
	s_load_dwordx2 s[4:5], s[0:1], 0x20
	s_load_dwordx2 s[10:11], s[0:1], 0x8
	v_mov_b64_e32 v[0:1], 0
	s_waitcnt lgkmcnt(0)
	s_barrier
	s_waitcnt lgkmcnt(0)
                                        ; implicit-def: $vgpr6
                                        ; implicit-def: $vgpr12
                                        ; implicit-def: $vgpr10
                                        ; implicit-def: $vgpr24
                                        ; implicit-def: $vgpr22
                                        ; implicit-def: $vgpr32
	s_and_saveexec_b64 s[0:1], s[2:3]
	s_cbranch_execz .LBB0_5
; %bb.4:
	ds_read2_b64 v[0:3], v48 offset1:49
	ds_read2_b64 v[20:23], v48 offset0:98 offset1:147
	ds_read2_b64 v[8:11], v48 offset0:196 offset1:245
	v_add_u32_e32 v12, 0x800, v48
	v_add_u32_e32 v16, 0xc00, v48
	ds_read2_b64 v[4:7], v12 offset0:38 offset1:87
	ds_read2_b64 v[12:15], v12 offset0:136 offset1:185
	;; [unrolled: 1-line block ×3, first 2 shown]
	ds_read_b64 v[32:33], v48 offset:4704
.LBB0_5:
	s_or_b64 exec, exec, s[0:1]
	s_waitcnt lgkmcnt(0)
	v_pk_add_f32 v[52:53], v[2:3], v[32:33] neg_lo:[0,1] neg_hi:[0,1]
	s_mov_b32 s16, 0xbf7e222b
	v_pk_add_f32 v[34:35], v[32:33], v[2:3]
	s_mov_b32 s0, 0x3df6dbef
	v_pk_mul_f32 v[16:17], v[52:53], s[16:17] op_sel_hi:[1,0]
	s_mov_b32 s24, 0xbf52af12
	v_pk_fma_f32 v[38:39], v[34:35], s[0:1], v[16:17] op_sel:[0,0,1] op_sel_hi:[1,0,0]
	v_pk_fma_f32 v[36:37], v[34:35], s[0:1], v[16:17] op_sel:[0,0,1] op_sel_hi:[1,0,0] neg_lo:[0,0,1] neg_hi:[0,0,1]
	v_pk_add_f32 v[70:71], v[20:21], v[26:27] neg_lo:[0,1] neg_hi:[0,1]
	s_mov_b32 s14, 0xbf6f5d39
	s_mov_b32 s22, 0x3f116cb1
	v_pk_mul_f32 v[16:17], v[52:53], s[24:25] op_sel_hi:[1,0]
	v_pk_add_f32 v[66:67], v[26:27], v[20:21]
	s_mov_b32 s6, 0xbeb58ec6
	v_pk_fma_f32 v[40:41], v[34:35], s[22:23], v[16:17] op_sel:[0,0,1] op_sel_hi:[1,0,0]
	v_pk_fma_f32 v[42:43], v[34:35], s[22:23], v[16:17] op_sel:[0,0,1] op_sel_hi:[1,0,0] neg_lo:[0,0,1] neg_hi:[0,0,1]
	v_pk_mul_f32 v[28:29], v[70:71], s[14:15] op_sel:[1,0] op_sel_hi:[0,0]
	v_mov_b32_e32 v16, v40
	v_mov_b32_e32 v17, v43
	v_pk_fma_f32 v[54:55], v[66:67], s[6:7], v[28:29] op_sel_hi:[1,0,1]
	v_pk_fma_f32 v[56:57], v[66:67], s[6:7], v[28:29] op_sel_hi:[1,0,1] neg_lo:[0,0,1] neg_hi:[0,0,1]
	s_mov_b32 s20, 0xbe750f2a
	v_pk_add_f32 v[16:17], v[16:17], v[0:1]
	v_mov_b32_e32 v28, v54
	v_mov_b32_e32 v29, v57
	s_mov_b32 s18, 0xbf788fa5
	v_pk_add_f32 v[16:17], v[28:29], v[16:17]
	v_pk_mul_f32 v[28:29], v[70:71], s[20:21] op_sel:[1,0] op_sel_hi:[0,0]
	v_mov_b32_e32 v18, v38
	v_mov_b32_e32 v19, v37
	v_pk_fma_f32 v[44:45], v[66:67], s[18:19], v[28:29] op_sel_hi:[1,0,1]
	v_pk_fma_f32 v[46:47], v[66:67], s[18:19], v[28:29] op_sel_hi:[1,0,1] neg_lo:[0,0,1] neg_hi:[0,0,1]
	v_pk_add_f32 v[18:19], v[18:19], v[0:1]
	v_mov_b32_e32 v28, v44
	v_mov_b32_e32 v29, v47
	v_pk_add_f32 v[140:141], v[22:23], v[24:25] neg_lo:[0,1] neg_hi:[0,1]
	v_pk_add_f32 v[74:75], v[24:25], v[22:23]
	v_pk_add_f32 v[18:19], v[28:29], v[18:19]
	v_pk_mul_f32 v[28:29], v[140:141], s[20:21] op_sel:[1,0] op_sel_hi:[0,0]
	v_pk_fma_f32 v[62:63], v[74:75], s[18:19], v[28:29] op_sel_hi:[1,0,1]
	v_pk_fma_f32 v[64:65], v[74:75], s[18:19], v[28:29] op_sel_hi:[1,0,1] neg_lo:[0,0,1] neg_hi:[0,0,1]
	v_mov_b32_e32 v28, v62
	v_mov_b32_e32 v29, v65
	s_mov_b32 s26, 0x3f6f5d39
	v_pk_add_f32 v[16:17], v[28:29], v[16:17]
	v_pk_mul_f32 v[28:29], v[140:141], s[26:27] op_sel:[1,0] op_sel_hi:[0,0]
	v_pk_fma_f32 v[58:59], v[74:75], s[6:7], v[28:29] op_sel_hi:[1,0,1]
	v_pk_fma_f32 v[60:61], v[74:75], s[6:7], v[28:29] op_sel_hi:[1,0,1] neg_lo:[0,0,1] neg_hi:[0,0,1]
	v_mov_b32_e32 v28, v58
	v_mov_b32_e32 v29, v61
	s_mov_b32 s38, 0x3f29c268
	v_pk_add_f32 v[148:149], v[8:9], v[14:15] neg_lo:[0,1] neg_hi:[0,1]
	v_pk_add_f32 v[18:19], v[28:29], v[18:19]
	s_mov_b32 s26, 0xbf3f9e67
	v_pk_add_f32 v[142:143], v[14:15], v[8:9]
	v_pk_mul_f32 v[28:29], v[148:149], s[38:39] op_sel:[1,0] op_sel_hi:[0,0]
	v_pk_fma_f32 v[76:77], v[142:143], s[26:27], v[28:29] op_sel_hi:[1,0,1]
	v_pk_fma_f32 v[78:79], v[142:143], s[26:27], v[28:29] op_sel_hi:[1,0,1] neg_lo:[0,0,1] neg_hi:[0,0,1]
	v_mov_b32_e32 v28, v76
	v_mov_b32_e32 v29, v79
	s_mov_b32 s34, 0x3eedf032
	v_pk_add_f32 v[16:17], v[28:29], v[16:17]
	s_mov_b32 s30, 0x3f62ad3f
	v_pk_mul_f32 v[28:29], v[148:149], s[34:35] op_sel:[1,0] op_sel_hi:[0,0]
	v_pk_fma_f32 v[68:69], v[142:143], s[30:31], v[28:29] op_sel_hi:[1,0,1]
	v_pk_fma_f32 v[72:73], v[142:143], s[30:31], v[28:29] op_sel_hi:[1,0,1] neg_lo:[0,0,1] neg_hi:[0,0,1]
	v_mov_b32_e32 v28, v68
	v_mov_b32_e32 v29, v73
	s_mov_b32 s28, 0x3f7e222b
	v_pk_add_f32 v[180:181], v[10:11], v[12:13] neg_lo:[0,1] neg_hi:[0,1]
	v_pk_add_f32 v[18:19], v[28:29], v[18:19]
	v_pk_add_f32 v[150:151], v[12:13], v[10:11]
	v_pk_mul_f32 v[28:29], v[180:181], s[28:29] op_sel:[1,0] op_sel_hi:[0,0]
	v_pk_fma_f32 v[84:85], v[150:151], s[0:1], v[28:29] op_sel_hi:[1,0,1]
	v_pk_fma_f32 v[86:87], v[150:151], s[0:1], v[28:29] op_sel_hi:[1,0,1] neg_lo:[0,0,1] neg_hi:[0,0,1]
	v_mov_b32_e32 v28, v84
	v_mov_b32_e32 v29, v87
	v_pk_add_f32 v[16:17], v[28:29], v[16:17]
	v_pk_mul_f32 v[28:29], v[180:181], s[24:25] op_sel:[1,0] op_sel_hi:[0,0]
	v_pk_fma_f32 v[80:81], v[150:151], s[22:23], v[28:29] op_sel_hi:[1,0,1]
	v_pk_fma_f32 v[82:83], v[150:151], s[22:23], v[28:29] op_sel_hi:[1,0,1] neg_lo:[0,0,1] neg_hi:[0,0,1]
	v_mov_b32_e32 v28, v80
	v_mov_b32_e32 v29, v83
	v_pk_add_f32 v[188:189], v[4:5], v[6:7] neg_lo:[0,1] neg_hi:[0,1]
	v_pk_add_f32 v[28:29], v[28:29], v[18:19]
	v_pk_add_f32 v[186:187], v[6:7], v[4:5]
	v_pk_mul_f32 v[18:19], v[188:189], s[34:35] op_sel:[1,0] op_sel_hi:[0,0]
	v_pk_fma_f32 v[102:103], v[186:187], s[30:31], v[18:19] op_sel_hi:[1,0,1]
	v_pk_fma_f32 v[104:105], v[186:187], s[30:31], v[18:19] op_sel_hi:[1,0,1] neg_lo:[0,0,1] neg_hi:[0,0,1]
	s_mov_b32 s36, 0xbf29c268
	v_mov_b32_e32 v18, v102
	v_mov_b32_e32 v19, v105
	v_pk_add_f32 v[18:19], v[18:19], v[16:17]
	v_pk_mul_f32 v[16:17], v[188:189], s[36:37] op_sel:[1,0] op_sel_hi:[0,0]
	v_pk_fma_f32 v[94:95], v[186:187], s[26:27], v[16:17] op_sel_hi:[1,0,1]
	v_pk_fma_f32 v[96:97], v[186:187], s[26:27], v[16:17] op_sel_hi:[1,0,1] neg_lo:[0,0,1] neg_hi:[0,0,1]
	v_mov_b32_e32 v16, v94
	v_mov_b32_e32 v17, v97
	v_pk_add_f32 v[16:17], v[16:17], v[28:29]
	v_pk_mul_f32 v[28:29], v[52:53], s[14:15] op_sel_hi:[1,0]
	v_pk_mul_f32 v[120:121], v[180:181], s[34:35] op_sel:[1,0] op_sel_hi:[0,0]
	v_pk_fma_f32 v[136:137], v[34:35], s[6:7], v[28:29] op_sel:[0,0,1] op_sel_hi:[1,0,0]
	v_pk_fma_f32 v[92:93], v[34:35], s[6:7], v[28:29] op_sel:[0,0,1] op_sel_hi:[1,0,0] neg_lo:[0,0,1] neg_hi:[0,0,1]
	v_pk_mul_f32 v[28:29], v[70:71], s[38:39] op_sel:[1,0] op_sel_hi:[0,0]
	v_pk_fma_f32 v[138:139], v[66:67], s[26:27], v[28:29] op_sel_hi:[1,0,1]
	v_pk_fma_f32 v[98:99], v[66:67], s[26:27], v[28:29] op_sel_hi:[1,0,1] neg_lo:[0,0,1] neg_hi:[0,0,1]
	v_mov_b32_e32 v28, v136
	v_mov_b32_e32 v29, v93
	v_pk_add_f32 v[28:29], v[28:29], v[0:1]
	v_mov_b32_e32 v30, v138
	v_mov_b32_e32 v31, v99
	v_pk_add_f32 v[28:29], v[30:31], v[28:29]
	v_pk_mul_f32 v[30:31], v[70:71], s[28:29] op_sel:[1,0] op_sel_hi:[0,0]
	v_pk_fma_f32 v[144:145], v[66:67], s[0:1], v[30:31] op_sel_hi:[1,0,1]
	v_pk_fma_f32 v[88:89], v[66:67], s[0:1], v[30:31] op_sel_hi:[1,0,1] neg_lo:[0,0,1] neg_hi:[0,0,1]
	v_pk_mul_f32 v[30:31], v[52:53], s[36:37] op_sel_hi:[1,0]
	v_mov_b32_e32 v100, v144
	v_pk_fma_f32 v[146:147], v[34:35], s[26:27], v[30:31] op_sel:[0,0,1] op_sel_hi:[1,0,0]
	v_pk_fma_f32 v[90:91], v[34:35], s[26:27], v[30:31] op_sel:[0,0,1] op_sel_hi:[1,0,0] neg_lo:[0,0,1] neg_hi:[0,0,1]
	v_mov_b32_e32 v30, v146
	v_mov_b32_e32 v31, v91
	v_pk_add_f32 v[30:31], v[30:31], v[0:1]
	v_mov_b32_e32 v101, v89
	v_pk_add_f32 v[30:31], v[100:101], v[30:31]
	v_pk_mul_f32 v[100:101], v[140:141], s[34:35] op_sel:[1,0] op_sel_hi:[0,0]
	v_pk_fma_f32 v[106:107], v[74:75], s[30:31], v[100:101] op_sel_hi:[1,0,1]
	v_pk_fma_f32 v[108:109], v[74:75], s[30:31], v[100:101] op_sel_hi:[1,0,1] neg_lo:[0,0,1] neg_hi:[0,0,1]
	v_mov_b32_e32 v100, v106
	v_mov_b32_e32 v101, v109
	v_pk_add_f32 v[28:29], v[100:101], v[28:29]
	v_pk_mul_f32 v[100:101], v[140:141], s[24:25] op_sel:[1,0] op_sel_hi:[0,0]
	v_pk_fma_f32 v[152:153], v[74:75], s[22:23], v[100:101] op_sel_hi:[1,0,1]
	v_pk_fma_f32 v[100:101], v[74:75], s[22:23], v[100:101] op_sel_hi:[1,0,1] neg_lo:[0,0,1] neg_hi:[0,0,1]
	v_mov_b32_e32 v110, v152
	v_mov_b32_e32 v111, v101
	v_pk_add_f32 v[30:31], v[110:111], v[30:31]
	v_pk_mul_f32 v[110:111], v[148:149], s[16:17] op_sel:[1,0] op_sel_hi:[0,0]
	v_pk_fma_f32 v[114:115], v[142:143], s[0:1], v[110:111] op_sel_hi:[1,0,1]
	v_pk_fma_f32 v[116:117], v[142:143], s[0:1], v[110:111] op_sel_hi:[1,0,1] neg_lo:[0,0,1] neg_hi:[0,0,1]
	s_mov_b32 s38, 0x3e750f2a
	v_mov_b32_e32 v110, v114
	v_mov_b32_e32 v111, v117
	v_pk_mul_f32 v[112:113], v[148:149], s[38:39] op_sel:[1,0] op_sel_hi:[0,0]
	v_pk_add_f32 v[28:29], v[110:111], v[28:29]
	v_pk_fma_f32 v[110:111], v[142:143], s[18:19], v[112:113] op_sel_hi:[1,0,1]
	v_pk_fma_f32 v[112:113], v[142:143], s[18:19], v[112:113] op_sel_hi:[1,0,1] neg_lo:[0,0,1] neg_hi:[0,0,1]
	v_mov_b32_e32 v118, v110
	v_mov_b32_e32 v119, v113
	v_pk_add_f32 v[30:31], v[118:119], v[30:31]
	v_pk_mul_f32 v[118:119], v[180:181], s[38:39] op_sel:[1,0] op_sel_hi:[0,0]
	v_pk_fma_f32 v[122:123], v[150:151], s[18:19], v[118:119] op_sel_hi:[1,0,1]
	v_pk_fma_f32 v[124:125], v[150:151], s[18:19], v[118:119] op_sel_hi:[1,0,1] neg_lo:[0,0,1] neg_hi:[0,0,1]
	v_mov_b32_e32 v118, v122
	v_mov_b32_e32 v119, v125
	v_pk_add_f32 v[28:29], v[118:119], v[28:29]
	v_pk_fma_f32 v[118:119], v[150:151], s[30:31], v[120:121] op_sel_hi:[1,0,1]
	v_pk_fma_f32 v[120:121], v[150:151], s[30:31], v[120:121] op_sel_hi:[1,0,1] neg_lo:[0,0,1] neg_hi:[0,0,1]
	v_mov_b32_e32 v126, v118
	v_mov_b32_e32 v127, v121
	s_mov_b32 s38, 0x3f52af12
	v_pk_add_f32 v[134:135], v[126:127], v[30:31]
	v_pk_mul_f32 v[30:31], v[188:189], s[38:39] op_sel:[1,0] op_sel_hi:[0,0]
	v_pk_fma_f32 v[130:131], v[186:187], s[22:23], v[30:31] op_sel_hi:[1,0,1]
	v_pk_fma_f32 v[132:133], v[186:187], s[22:23], v[30:31] op_sel_hi:[1,0,1] neg_lo:[0,0,1] neg_hi:[0,0,1]
	v_mov_b32_e32 v30, v130
	v_mov_b32_e32 v31, v133
	v_pk_add_f32 v[30:31], v[30:31], v[28:29]
	v_pk_mul_f32 v[28:29], v[188:189], s[14:15] op_sel:[1,0] op_sel_hi:[0,0]
	v_pk_fma_f32 v[126:127], v[186:187], s[6:7], v[28:29] op_sel_hi:[1,0,1]
	v_pk_fma_f32 v[128:129], v[186:187], s[6:7], v[28:29] op_sel_hi:[1,0,1] neg_lo:[0,0,1] neg_hi:[0,0,1]
	v_mov_b32_e32 v28, v126
	v_mov_b32_e32 v29, v129
	s_mov_b32 s40, 0xbeedf032
	v_pk_add_f32 v[28:29], v[28:29], v[134:135]
	v_pk_mul_f32 v[134:135], v[52:53], s[40:41] op_sel_hi:[1,0]
	v_pk_mul_f32 v[158:159], v[70:71], s[24:25] op_sel:[1,0] op_sel_hi:[0,0]
	v_pk_fma_f32 v[156:157], v[34:35], s[30:31], v[134:135] op_sel:[0,0,1] op_sel_hi:[1,0,0]
	v_pk_fma_f32 v[154:155], v[34:35], s[30:31], v[134:135] op_sel:[0,0,1] op_sel_hi:[1,0,0] neg_lo:[0,0,1] neg_hi:[0,0,1]
	v_mov_b32_e32 v134, v156
	v_mov_b32_e32 v135, v155
	v_pk_fma_f32 v[160:161], v[66:67], s[22:23], v[158:159] op_sel_hi:[1,0,1]
	v_pk_fma_f32 v[158:159], v[66:67], s[22:23], v[158:159] op_sel_hi:[1,0,1] neg_lo:[0,0,1] neg_hi:[0,0,1]
	v_pk_add_f32 v[134:135], v[134:135], v[0:1]
	v_mov_b32_e32 v162, v160
	v_mov_b32_e32 v163, v159
	v_pk_mul_f32 v[52:53], v[52:53], s[20:21] op_sel_hi:[1,0]
	v_pk_add_f32 v[170:171], v[162:163], v[134:135]
	v_pk_fma_f32 v[166:167], v[34:35], s[18:19], v[52:53] op_sel:[0,0,1] op_sel_hi:[1,0,0]
	v_pk_fma_f32 v[134:135], v[34:35], s[18:19], v[52:53] op_sel:[0,0,1] op_sel_hi:[1,0,0] neg_lo:[0,0,1] neg_hi:[0,0,1]
	v_pk_mul_f32 v[34:35], v[70:71], s[34:35] op_sel:[1,0] op_sel_hi:[0,0]
	v_pk_fma_f32 v[168:169], v[66:67], s[30:31], v[34:35] op_sel_hi:[1,0,1]
	v_pk_fma_f32 v[66:67], v[66:67], s[30:31], v[34:35] op_sel_hi:[1,0,1] neg_lo:[0,0,1] neg_hi:[0,0,1]
	v_mov_b32_e32 v34, v166
	v_mov_b32_e32 v35, v135
	;; [unrolled: 1-line block ×4, first 2 shown]
	v_pk_add_f32 v[34:35], v[34:35], v[0:1]
	v_mul_lo_u16_e32 v54, 13, v51
	v_pk_add_f32 v[34:35], v[52:53], v[34:35]
	v_pk_mul_f32 v[52:53], v[140:141], s[36:37] op_sel:[1,0] op_sel_hi:[0,0]
	v_pk_fma_f32 v[178:179], v[74:75], s[26:27], v[52:53] op_sel_hi:[1,0,1]
	v_pk_fma_f32 v[70:71], v[74:75], s[26:27], v[52:53] op_sel_hi:[1,0,1] neg_lo:[0,0,1] neg_hi:[0,0,1]
	v_pk_mul_f32 v[52:53], v[140:141], s[16:17] op_sel:[1,0] op_sel_hi:[0,0]
	v_pk_fma_f32 v[162:163], v[74:75], s[0:1], v[52:53] op_sel_hi:[1,0,1]
	v_pk_fma_f32 v[164:165], v[74:75], s[0:1], v[52:53] op_sel_hi:[1,0,1] neg_lo:[0,0,1] neg_hi:[0,0,1]
	v_mov_b32_e32 v52, v162
	v_mov_b32_e32 v53, v165
	;; [unrolled: 1-line block ×4, first 2 shown]
	v_pk_mul_f32 v[140:141], v[148:149], s[14:15] op_sel:[1,0] op_sel_hi:[0,0]
	v_pk_add_f32 v[52:53], v[52:53], v[170:171]
	v_pk_add_f32 v[34:35], v[74:75], v[34:35]
	v_pk_mul_f32 v[74:75], v[148:149], s[38:39] op_sel:[1,0] op_sel_hi:[0,0]
	v_pk_fma_f32 v[170:171], v[142:143], s[6:7], v[140:141] op_sel_hi:[1,0,1]
	v_pk_fma_f32 v[172:173], v[142:143], s[6:7], v[140:141] op_sel_hi:[1,0,1] neg_lo:[0,0,1] neg_hi:[0,0,1]
	v_pk_fma_f32 v[184:185], v[142:143], s[22:23], v[74:75] op_sel_hi:[1,0,1]
	v_pk_fma_f32 v[74:75], v[142:143], s[22:23], v[74:75] op_sel_hi:[1,0,1] neg_lo:[0,0,1] neg_hi:[0,0,1]
	v_mov_b32_e32 v140, v170
	v_mov_b32_e32 v141, v173
	v_pk_add_f32 v[52:53], v[140:141], v[52:53]
	v_mov_b32_e32 v140, v184
	v_mov_b32_e32 v141, v75
	v_pk_add_f32 v[34:35], v[140:141], v[34:35]
	v_pk_mul_f32 v[140:141], v[180:181], s[36:37] op_sel:[1,0] op_sel_hi:[0,0]
	v_pk_fma_f32 v[174:175], v[150:151], s[26:27], v[140:141] op_sel_hi:[1,0,1]
	v_pk_fma_f32 v[176:177], v[150:151], s[26:27], v[140:141] op_sel_hi:[1,0,1] neg_lo:[0,0,1] neg_hi:[0,0,1]
	v_mov_b32_e32 v140, v174
	v_mov_b32_e32 v141, v177
	v_pk_mul_f32 v[142:143], v[180:181], s[14:15] op_sel:[1,0] op_sel_hi:[0,0]
	v_pk_add_f32 v[52:53], v[140:141], v[52:53]
	v_pk_fma_f32 v[140:141], v[150:151], s[6:7], v[142:143] op_sel_hi:[1,0,1]
	v_pk_fma_f32 v[142:143], v[150:151], s[6:7], v[142:143] op_sel_hi:[1,0,1] neg_lo:[0,0,1] neg_hi:[0,0,1]
	v_mov_b32_e32 v148, v140
	v_mov_b32_e32 v149, v143
	v_pk_add_f32 v[34:35], v[148:149], v[34:35]
	v_pk_mul_f32 v[148:149], v[188:189], s[20:21] op_sel:[1,0] op_sel_hi:[0,0]
	v_pk_fma_f32 v[180:181], v[186:187], s[18:19], v[148:149] op_sel_hi:[1,0,1]
	v_pk_fma_f32 v[182:183], v[186:187], s[18:19], v[148:149] op_sel_hi:[1,0,1] neg_lo:[0,0,1] neg_hi:[0,0,1]
	v_mov_b32_e32 v148, v180
	v_mov_b32_e32 v149, v183
	v_pk_mul_f32 v[150:151], v[188:189], s[28:29] op_sel:[1,0] op_sel_hi:[0,0]
	v_pk_add_f32 v[52:53], v[148:149], v[52:53]
	v_pk_fma_f32 v[148:149], v[186:187], s[0:1], v[150:151] op_sel_hi:[1,0,1]
	v_pk_fma_f32 v[150:151], v[186:187], s[0:1], v[150:151] op_sel_hi:[1,0,1] neg_lo:[0,0,1] neg_hi:[0,0,1]
	v_mov_b32_e32 v186, v148
	v_mov_b32_e32 v187, v151
	v_pk_add_f32 v[34:35], v[186:187], v[34:35]
	s_barrier
	s_and_saveexec_b64 s[0:1], s[2:3]
	s_cbranch_execz .LBB0_7
; %bb.6:
	v_pk_add_f32 v[2:3], v[2:3], v[0:1]
	v_mov_b32_e32 v155, v157
	v_pk_add_f32 v[2:3], v[20:21], v[2:3]
	v_mov_b32_e32 v159, v161
	;; [unrolled: 2-line block ×5, first 2 shown]
	v_pk_add_f32 v[2:3], v[4:5], v[2:3]
	v_pk_add_f32 v[4:5], v[154:155], v[0:1]
	;; [unrolled: 1-line block ×11, first 2 shown]
	v_mov_b32_e32 v183, v181
	v_mov_b32_e32 v37, v39
	v_pk_add_f32 v[2:3], v[32:33], v[2:3]
	v_pk_add_f32 v[4:5], v[182:183], v[4:5]
	v_lshlrev_b32_e32 v6, 3, v54
	v_mov_b32_e32 v43, v41
	ds_write2_b64 v6, v[2:3], v[4:5] offset1:1
	v_pk_add_f32 v[2:3], v[42:43], v[0:1]
	v_mov_b32_e32 v57, v55
	v_pk_add_f32 v[4:5], v[36:37], v[0:1]
	v_mov_b32_e32 v47, v45
	;; [unrolled: 2-line block ×10, first 2 shown]
	v_mov_b32_e32 v135, v167
	v_mov_b32_e32 v91, v147
	;; [unrolled: 1-line block ×3, first 2 shown]
	v_pk_add_f32 v[2:3], v[104:105], v[2:3]
	v_pk_add_f32 v[4:5], v[96:97], v[4:5]
	v_mov_b32_e32 v67, v169
	v_mov_b32_e32 v89, v145
	;; [unrolled: 1-line block ×3, first 2 shown]
	ds_write2_b64 v6, v[2:3], v[4:5] offset0:2 offset1:3
	v_pk_add_f32 v[2:3], v[92:93], v[0:1]
	v_pk_add_f32 v[4:5], v[90:91], v[0:1]
	;; [unrolled: 1-line block ×3, first 2 shown]
	v_mov_b32_e32 v71, v179
	v_mov_b32_e32 v101, v153
	v_pk_add_f32 v[2:3], v[98:99], v[2:3]
	v_mov_b32_e32 v109, v107
	v_pk_add_f32 v[4:5], v[88:89], v[4:5]
	v_pk_add_f32 v[0:1], v[66:67], v[0:1]
	v_mov_b32_e32 v75, v185
	v_pk_add_f32 v[2:3], v[108:109], v[2:3]
	v_mov_b32_e32 v117, v115
	;; [unrolled: 2-line block ×3, first 2 shown]
	v_pk_add_f32 v[0:1], v[70:71], v[0:1]
	v_pk_add_f32 v[2:3], v[116:117], v[2:3]
	v_mov_b32_e32 v125, v123
	v_pk_add_f32 v[4:5], v[112:113], v[4:5]
	v_mov_b32_e32 v121, v119
	;; [unrolled: 2-line block ×6, first 2 shown]
	v_pk_add_f32 v[2:3], v[132:133], v[2:3]
	v_pk_add_f32 v[4:5], v[128:129], v[4:5]
	v_pk_add_f32 v[0:1], v[150:151], v[0:1]
	ds_write2_b64 v6, v[2:3], v[4:5] offset0:4 offset1:5
	ds_write2_b64 v6, v[0:1], v[34:35] offset0:6 offset1:7
	;; [unrolled: 1-line block ×4, first 2 shown]
	ds_write_b64 v6, v[52:53] offset:96
.LBB0_7:
	s_or_b64 exec, exec, s[0:1]
	s_movk_i32 s0, 0x4f
	v_mul_lo_u16_sdwa v0, v51, s0 dst_sel:DWORD dst_unused:UNUSED_PAD src0_sel:BYTE_0 src1_sel:DWORD
	v_lshrrev_b16_e32 v36, 10, v0
	v_mul_lo_u16_e32 v0, 13, v36
	v_sub_u16_e32 v0, v51, v0
	v_and_b32_e32 v37, 0xff, v0
	v_mul_u32_u24_e32 v0, 6, v37
	v_lshlrev_b32_e32 v12, 3, v0
	s_load_dwordx4 s[4:7], s[4:5], 0x0
	s_waitcnt lgkmcnt(0)
	s_barrier
	global_load_dwordx4 v[8:11], v12, s[10:11] offset:16
	global_load_dwordx4 v[4:7], v12, s[10:11]
	global_load_dwordx4 v[0:3], v12, s[10:11] offset:32
	v_add_u32_e32 v49, 0x400, v48
	v_add_u32_e32 v55, 0x800, v48
	ds_read2_b64 v[12:15], v48 offset1:91
	ds_read_b64 v[32:33], v48 offset:4368
	ds_read2_b64 v[20:23], v49 offset0:54 offset1:145
	ds_read2_b64 v[24:27], v55 offset0:108 offset1:199
	v_mul_u32_u24_e32 v36, 0x5b, v36
	v_add_lshl_u32 v96, v36, v37, 3
	s_mov_b32 s0, 0x3eae86e6
	s_waitcnt lgkmcnt(1)
	v_mov_b32_e32 v36, v21
	s_waitcnt lgkmcnt(0)
	v_mov_b32_e32 v37, v24
	v_mov_b32_e32 v38, v27
	v_mov_b32_e32 v39, v22
	s_mov_b32 s1, 0xbf08b237
	s_mov_b32 s18, 0x3d64c772
	;; [unrolled: 1-line block ×8, first 2 shown]
	s_barrier
	s_mov_b32 s22, 0x3f3bfb3b
	s_waitcnt vmcnt(2)
	v_mul_f32_e32 v41, v23, v8
	v_mul_f32_e32 v43, v22, v9
	;; [unrolled: 1-line block ×4, first 2 shown]
	s_waitcnt vmcnt(1)
	v_mul_f32_e32 v40, v21, v7
	s_waitcnt vmcnt(0)
	v_mul_f32_e32 v42, v27, v1
	v_mov_b32_e32 v21, v25
	v_mov_b32_e32 v24, v7
	v_mov_b32_e32 v25, v11
	v_mov_b32_e32 v27, v23
	v_mov_b32_e32 v22, v1
	v_mov_b32_e32 v23, v9
	v_pk_mul_f32 v[56:57], v[14:15], v[4:5] op_sel_hi:[1,0]
	v_mov_b32_e32 v58, v6
	v_mov_b32_e32 v59, v10
	;; [unrolled: 1-line block ×4, first 2 shown]
	v_pk_mul_f32 v[62:63], v[32:33], v[2:3] op_sel_hi:[1,0]
	v_mov_b32_e32 v44, v3
	v_fma_f32 v40, v20, v6, -v40
	v_pk_mul_f32 v[20:21], v[20:21], v[24:25]
	v_pk_mul_f32 v[22:23], v[26:27], v[22:23]
	v_fma_f32 v42, v26, v0, -v42
	v_pk_fma_f32 v[64:65], v[14:15], v[4:5], v[56:57] op_sel:[0,1,1] op_sel_hi:[1,1,0]
	v_pk_fma_f32 v[14:15], v[14:15], v[4:5], v[56:57] op_sel:[0,1,1] op_sel_hi:[1,1,0] neg_lo:[1,0,0] neg_hi:[1,0,0]
	v_pk_fma_f32 v[24:25], v[32:33], v[44:45], v[62:63] op_sel:[0,0,1] op_sel_hi:[1,0,0]
	v_pk_fma_f32 v[26:27], v[32:33], v[44:45], v[62:63] op_sel:[0,0,1] op_sel_hi:[1,0,0] neg_lo:[1,0,0] neg_hi:[1,0,0]
	v_pk_fma_f32 v[56:57], v[36:37], v[6:7], v[20:21]
	v_pk_fma_f32 v[20:21], v[36:37], v[58:59], v[20:21] neg_lo:[0,0,1] neg_hi:[0,0,1]
	v_pk_fma_f32 v[36:37], v[38:39], v[0:1], v[22:23]
	v_pk_fma_f32 v[22:23], v[38:39], v[60:61], v[22:23] neg_lo:[0,0,1] neg_hi:[0,0,1]
	v_mov_b32_e32 v65, v15
	v_mov_b32_e32 v25, v27
	;; [unrolled: 1-line block ×6, first 2 shown]
	v_pk_add_f32 v[32:33], v[40:41], v[42:43]
	v_mov_b32_e32 v15, v40
	v_mov_b32_e32 v27, v42
	v_pk_add_f32 v[38:39], v[64:65], v[24:25]
	v_pk_add_f32 v[40:41], v[44:45], v[46:47]
	;; [unrolled: 1-line block ×3, first 2 shown]
	v_mov_b32_e32 v26, v33
	v_mov_b32_e32 v20, v23
	;; [unrolled: 1-line block ×6, first 2 shown]
	v_pk_add_f32 v[24:25], v[64:65], v[24:25] neg_lo:[0,1] neg_hi:[0,1]
	v_pk_add_f32 v[36:37], v[56:57], v[36:37] neg_lo:[0,1] neg_hi:[0,1]
	v_pk_add_f32 v[56:57], v[32:33], v[40:41]
	v_pk_add_f32 v[14:15], v[14:15], v[26:27] neg_lo:[0,1] neg_hi:[0,1]
	v_pk_add_f32 v[20:21], v[20:21], v[22:23]
	v_mov_b32_e32 v47, v25
	v_mov_b32_e32 v46, v14
	v_mov_b32_e32 v58, v20
	v_mov_b32_e32 v59, v38
	v_mov_b32_e32 v33, v57
	v_mov_b32_e32 v44, v24
	v_mov_b32_e32 v45, v37
	v_pk_add_f32 v[46:47], v[46:47], v[36:37] neg_lo:[0,1] neg_hi:[0,1]
	v_pk_add_f32 v[58:59], v[58:59], v[32:33] neg_lo:[0,1] neg_hi:[0,1]
	v_mov_b32_e32 v41, v57
	v_mov_b32_e32 v60, v20
	;; [unrolled: 1-line block ×3, first 2 shown]
	v_pk_add_f32 v[20:21], v[56:57], v[20:21]
	v_pk_add_f32 v[26:27], v[44:45], v[14:15] neg_lo:[0,1] neg_hi:[0,1]
	v_pk_add_f32 v[44:45], v[36:37], v[14:15]
	v_pk_mul_f32 v[46:47], v[46:47], s[16:17]
	v_pk_add_f32 v[60:61], v[40:41], v[60:61] neg_lo:[0,1] neg_hi:[0,1]
	v_pk_add_f32 v[12:13], v[12:13], v[20:21]
	s_mov_b32 s16, 0x3f955555
	v_pk_mul_f32 v[56:57], v[58:59], s[18:19]
	v_pk_mul_f32 v[22:23], v[26:27], s[0:1]
	v_pk_add_f32 v[44:45], v[44:45], v[24:25]
	v_pk_mul_f32 v[58:59], v[60:61], s[20:21]
	v_pk_fma_f32 v[20:21], v[20:21], s[16:17], v[12:13] op_sel_hi:[1,0,1] neg_lo:[1,0,0] neg_hi:[1,0,0]
	v_pk_fma_f32 v[60:61], v[60:61], s[20:21], v[56:57]
	v_pk_fma_f32 v[26:27], v[26:27], s[0:1], v[46:47]
	v_pk_add_f32 v[60:61], v[60:61], v[20:21]
	v_pk_fma_f32 v[26:27], v[44:45], s[14:15], v[26:27] op_sel_hi:[1,0,1]
	v_mov_b32_e32 v37, v15
	v_pk_add_f32 v[62:63], v[60:61], v[26:27]
	v_pk_add_f32 v[26:27], v[60:61], v[26:27] neg_lo:[0,1] neg_hi:[0,1]
	v_mov_b32_e32 v60, v62
	v_mov_b32_e32 v61, v27
	;; [unrolled: 1-line block ×4, first 2 shown]
	ds_write2_b64 v96, v[12:13], v[60:61] offset1:13
	v_pk_add_f32 v[12:13], v[36:37], v[24:25] neg_lo:[0,1] neg_hi:[0,1]
	s_mov_b32 s20, 0x3f5ff5aa
	v_pk_add_f32 v[14:15], v[32:33], v[40:41] neg_lo:[0,1] neg_hi:[0,1]
	v_mov_b32_e32 v24, v58
	v_mov_b32_e32 v25, v57
	;; [unrolled: 1-line block ×6, first 2 shown]
	v_pk_fma_f32 v[24:25], v[14:15], s[22:23], v[24:25] op_sel_hi:[1,0,1] neg_lo:[1,0,1] neg_hi:[1,0,1]
	v_pk_fma_f32 v[32:33], v[12:13], s[20:21], v[32:33] op_sel_hi:[1,0,1] neg_lo:[1,0,1] neg_hi:[1,0,1]
	;; [unrolled: 1-line block ×4, first 2 shown]
	v_pk_add_f32 v[24:25], v[24:25], v[20:21]
	v_pk_fma_f32 v[32:33], v[44:45], s[14:15], v[32:33] op_sel_hi:[1,0,1]
	v_pk_add_f32 v[14:15], v[14:15], v[20:21]
	v_pk_fma_f32 v[12:13], v[44:45], s[14:15], v[12:13] op_sel_hi:[1,0,1]
	v_pk_add_f32 v[36:37], v[24:25], v[32:33]
	v_pk_add_f32 v[24:25], v[24:25], v[32:33] neg_lo:[0,1] neg_hi:[0,1]
	v_pk_add_f32 v[20:21], v[14:15], v[12:13] neg_lo:[0,1] neg_hi:[0,1]
	v_pk_add_f32 v[12:13], v[14:15], v[12:13]
	v_mov_b32_e32 v32, v36
	v_mov_b32_e32 v33, v25
	;; [unrolled: 1-line block ×4, first 2 shown]
	ds_write2_b64 v96, v[32:33], v[14:15] offset0:26 offset1:39
	v_mov_b32_e32 v13, v21
	v_mov_b32_e32 v25, v37
	v_mov_b32_e32 v27, v63
	v_mad_u64_u32 v[32:33], s[10:11], v51, 48, s[10:11]
	ds_write2_b64 v96, v[12:13], v[24:25] offset0:52 offset1:65
	ds_write_b64 v96, v[26:27] offset:624
	s_waitcnt lgkmcnt(0)
	s_barrier
	global_load_dwordx4 v[24:27], v[32:33], off offset:640
	global_load_dwordx4 v[20:23], v[32:33], off offset:624
	;; [unrolled: 1-line block ×3, first 2 shown]
	ds_read2_b64 v[36:39], v49 offset0:54 offset1:145
	ds_read2_b64 v[40:43], v55 offset0:108 offset1:199
	ds_read2_b64 v[44:47], v48 offset1:91
	ds_read_b64 v[32:33], v48 offset:4368
	s_mov_b32 s10, s1
	s_waitcnt vmcnt(2) lgkmcnt(3)
	v_mul_f32_e32 v56, v39, v25
	v_mul_f32_e32 v39, v39, v24
	;; [unrolled: 1-line block ×3, first 2 shown]
	s_waitcnt vmcnt(1) lgkmcnt(1)
	v_pk_mul_f32 v[60:61], v[46:47], v[20:21] op_sel_hi:[1,0]
	v_pk_mul_f32 v[62:63], v[36:37], v[22:23] op_sel_hi:[1,0]
	v_fma_f32 v65, v38, v24, -v56
	v_mov_b32_e32 v38, v23
	v_pk_fma_f32 v[68:69], v[46:47], v[20:21], v[60:61] op_sel:[0,1,1] op_sel_hi:[1,1,0]
	v_pk_fma_f32 v[46:47], v[46:47], v[20:21], v[60:61] op_sel:[0,1,1] op_sel_hi:[1,1,0] neg_lo:[1,0,0] neg_hi:[1,0,0]
	v_pk_fma_f32 v[60:61], v[36:37], v[38:39], v[62:63] op_sel:[0,0,1] op_sel_hi:[1,0,0]
	v_pk_fma_f32 v[36:37], v[36:37], v[38:39], v[62:63] op_sel:[0,0,1] op_sel_hi:[1,0,0] neg_lo:[1,0,0] neg_hi:[1,0,0]
	s_waitcnt vmcnt(0)
	v_pk_mul_f32 v[62:63], v[42:43], v[12:13] op_sel_hi:[1,0]
	v_mov_b32_e32 v36, v15
	v_pk_fma_f32 v[70:71], v[42:43], v[12:13], v[62:63] op_sel:[0,1,1] op_sel_hi:[1,1,0]
	v_pk_fma_f32 v[42:43], v[42:43], v[12:13], v[62:63] op_sel:[0,1,1] op_sel_hi:[1,1,0] neg_lo:[1,0,0] neg_hi:[1,0,0]
	s_waitcnt lgkmcnt(0)
	v_pk_mul_f32 v[62:63], v[32:33], v[14:15] op_sel_hi:[1,0]
	v_mul_f32_e32 v58, v41, v27
	v_pk_fma_f32 v[72:73], v[32:33], v[36:37], v[62:63] op_sel:[0,0,1] op_sel_hi:[1,0,0]
	v_pk_fma_f32 v[32:33], v[32:33], v[36:37], v[62:63] op_sel:[0,0,1] op_sel_hi:[1,0,0] neg_lo:[1,0,0] neg_hi:[1,0,0]
	v_mul_f32_e32 v41, v41, v26
	v_mul_f32_e32 v59, v40, v27
	v_fma_f32 v67, v40, v26, -v58
	v_mov_b32_e32 v40, v47
	v_mov_b32_e32 v58, v33
	v_mov_b32_e32 v38, v37
	v_mov_b32_e32 v56, v43
	v_mov_b32_e32 v69, v47
	v_mov_b32_e32 v61, v37
	v_mov_b32_e32 v71, v43
	v_mov_b32_e32 v73, v33
	v_pk_add_f32 v[32:33], v[40:41], v[58:59]
	v_pk_add_f32 v[36:37], v[38:39], v[56:57]
	;; [unrolled: 1-line block ×3, first 2 shown]
	v_pk_add_f32 v[68:69], v[68:69], v[72:73] neg_lo:[0,1] neg_hi:[0,1]
	v_pk_add_f32 v[72:73], v[60:61], v[70:71]
	v_mov_b32_e32 v66, v33
	v_mov_b32_e32 v64, v37
	v_pk_add_f32 v[38:39], v[66:67], v[64:65] neg_lo:[0,1] neg_hi:[0,1]
	v_mov_b32_e32 v58, v65
	v_mov_b32_e32 v59, v72
	;; [unrolled: 1-line block ×4, first 2 shown]
	v_pk_add_f32 v[60:61], v[60:61], v[70:71] neg_lo:[0,1] neg_hi:[0,1]
	v_pk_add_f32 v[56:57], v[36:37], v[32:33]
	v_pk_add_f32 v[58:59], v[58:59], v[64:65]
	v_pk_add_f32 v[46:47], v[38:39], v[60:61] neg_lo:[0,1] neg_hi:[0,1]
	v_mov_b32_e32 v37, v72
	v_mov_b32_e32 v33, v62
	v_mov_b32_e32 v64, v58
	v_mov_b32_e32 v65, v57
	v_pk_add_f32 v[40:41], v[60:61], v[68:69] neg_lo:[0,1] neg_hi:[0,1]
	v_pk_mul_f32 v[46:47], v[46:47], s[10:11] op_sel_hi:[1,0]
	v_pk_add_f32 v[62:63], v[36:37], v[32:33] neg_lo:[0,1] neg_hi:[0,1]
	v_pk_add_f32 v[66:67], v[64:65], v[36:37] neg_lo:[0,1] neg_hi:[0,1]
	v_pk_add_f32 v[56:57], v[56:57], v[58:59]
	v_pk_add_f32 v[36:37], v[38:39], v[60:61]
	v_pk_add_f32 v[32:33], v[32:33], v[64:65] neg_lo:[0,1] neg_hi:[0,1]
	s_mov_b32 s10, s19
	v_pk_mul_f32 v[42:43], v[40:41], s[20:21] op_sel_hi:[1,0]
	v_pk_add_f32 v[58:59], v[36:37], v[68:69]
	v_pk_add_f32 v[36:37], v[44:45], v[56:57]
	v_pk_mul_f32 v[44:45], v[66:67], s[18:19] op_sel_hi:[1,0]
	v_pk_mul_f32 v[64:65], v[32:33], s[10:11] op_sel_hi:[1,0]
	v_pk_add_f32 v[38:39], v[68:69], v[38:39] neg_lo:[0,1] neg_hi:[0,1]
	v_pk_fma_f32 v[60:61], v[62:63], s[22:23], v[44:45] op_sel_hi:[1,0,1] neg_lo:[0,0,1] neg_hi:[0,0,1]
	v_pk_fma_f32 v[62:63], v[62:63], s[22:23], v[64:65] op_sel_hi:[1,0,1] neg_lo:[1,0,1] neg_hi:[1,0,1]
	;; [unrolled: 1-line block ×5, first 2 shown]
	v_pk_fma_f32 v[32:33], v[32:33], s[10:11], v[44:45] op_sel_hi:[1,0,1]
	v_pk_fma_f32 v[38:39], v[38:39], s[0:1], v[46:47] op_sel_hi:[1,0,1]
	v_pk_add_f32 v[44:45], v[62:63], v[56:57]
	v_pk_fma_f32 v[42:43], v[58:59], s[14:15], v[42:43] op_sel_hi:[1,0,1]
	v_pk_add_f32 v[32:33], v[32:33], v[56:57]
	v_pk_add_f32 v[46:47], v[60:61], v[56:57]
	v_pk_fma_f32 v[38:39], v[58:59], s[14:15], v[38:39] op_sel_hi:[1,0,1]
	v_pk_fma_f32 v[40:41], v[58:59], s[14:15], v[40:41] op_sel_hi:[1,0,1]
	v_pk_add_f32 v[56:57], v[44:45], v[42:43]
	v_pk_add_f32 v[42:43], v[44:45], v[42:43] neg_lo:[0,1] neg_hi:[0,1]
	v_mov_b32_e32 v44, v56
	v_mov_b32_e32 v45, v43
	v_pk_add_f32 v[58:59], v[46:47], v[40:41] neg_lo:[0,1] neg_hi:[0,1]
	v_pk_add_f32 v[40:41], v[46:47], v[40:41]
	v_mov_b32_e32 v43, v57
	v_pk_add_f32 v[56:57], v[32:33], v[38:39] neg_lo:[0,1] neg_hi:[0,1]
	v_pk_add_f32 v[38:39], v[32:33], v[38:39]
	v_mov_b32_e32 v46, v58
	v_mov_b32_e32 v47, v41
	;; [unrolled: 1-line block ×6, first 2 shown]
	ds_write2_b64 v48, v[36:37], v[38:39] offset1:91
	ds_write2_b64 v49, v[44:45], v[46:47] offset0:54 offset1:145
	ds_write2_b64 v55, v[40:41], v[42:43] offset0:108 offset1:199
	ds_write_b64 v48, v[32:33] offset:4368
	s_waitcnt lgkmcnt(0)
	s_barrier
	s_and_saveexec_b64 s[0:1], s[2:3]
	s_cbranch_execz .LBB0_9
; %bb.8:
	v_mov_b32_e32 v49, 0
	v_lshl_add_u64 v[56:57], s[8:9], 0, v[48:49]
	s_mov_b64 s[10:11], 0x13e8
	v_lshl_add_u64 v[58:59], v[56:57], 0, s[10:11]
	global_load_dwordx2 v[62:63], v[58:59], off offset:392
	v_add_co_u32_e32 v60, vcc, 0x1000, v56
	s_movk_i32 s10, 0x2000
	s_nop 0
	v_addc_co_u32_e32 v61, vcc, 0, v57, vcc
	global_load_dwordx2 v[64:65], v[60:61], off offset:1000
	global_load_dwordx2 v[76:77], v[58:59], off offset:784
	;; [unrolled: 1-line block ×4, first 2 shown]
	v_add_co_u32_e32 v56, vcc, s10, v56
	global_load_dwordx2 v[82:83], v[58:59], off offset:1960
	global_load_dwordx2 v[84:85], v[58:59], off offset:2352
	;; [unrolled: 1-line block ×4, first 2 shown]
	v_addc_co_u32_e32 v57, vcc, 0, v57, vcc
	global_load_dwordx2 v[90:91], v[58:59], off offset:3528
	global_load_dwordx2 v[92:93], v[56:57], off offset:1216
	;; [unrolled: 1-line block ×4, first 2 shown]
	ds_read2_b64 v[56:59], v48 offset1:49
	v_add_u32_e32 v49, 0xc00, v48
	s_waitcnt vmcnt(12) lgkmcnt(0)
	v_mul_f32_e32 v60, v59, v63
	v_mul_f32_e32 v61, v58, v63
	v_fma_f32 v60, v58, v62, -v60
	s_waitcnt vmcnt(11)
	v_mul_f32_e32 v66, v57, v65
	v_mul_f32_e32 v63, v56, v65
	v_fmac_f32_e32 v61, v59, v62
	v_fma_f32 v62, v56, v64, -v66
	v_fmac_f32_e32 v63, v57, v64
	ds_write2_b64 v48, v[62:63], v[60:61] offset1:49
	ds_read2_b64 v[56:59], v48 offset0:98 offset1:147
	ds_read2_b64 v[60:63], v48 offset0:196 offset1:245
	;; [unrolled: 1-line block ×5, first 2 shown]
	ds_read_b64 v[100:101], v48 offset:4704
	s_waitcnt vmcnt(10) lgkmcnt(5)
	v_mul_f32_e32 v97, v57, v77
	v_mul_f32_e32 v103, v56, v77
	s_waitcnt vmcnt(9)
	v_mul_f32_e32 v104, v59, v79
	v_mul_f32_e32 v77, v58, v79
	s_waitcnt vmcnt(8) lgkmcnt(4)
	v_mul_f32_e32 v105, v61, v81
	v_mul_f32_e32 v79, v60, v81
	s_waitcnt vmcnt(7)
	v_mul_f32_e32 v106, v63, v83
	v_mul_f32_e32 v81, v62, v83
	;; [unrolled: 6-line block ×4, first 2 shown]
	s_waitcnt vmcnt(1) lgkmcnt(1)
	v_mul_f32_e32 v111, v73, v95
	v_mul_f32_e32 v91, v72, v95
	;; [unrolled: 1-line block ×4, first 2 shown]
	s_waitcnt vmcnt(0) lgkmcnt(0)
	v_mul_f32_e32 v113, v101, v99
	v_mul_f32_e32 v93, v100, v99
	v_fma_f32 v102, v56, v76, -v97
	v_fmac_f32_e32 v103, v57, v76
	v_fma_f32 v76, v58, v78, -v104
	v_fmac_f32_e32 v77, v59, v78
	;; [unrolled: 2-line block ×11, first 2 shown]
	ds_write2_b64 v48, v[102:103], v[76:77] offset0:98 offset1:147
	ds_write2_b64 v48, v[78:79], v[80:81] offset0:196 offset1:245
	ds_write2_b64 v55, v[82:83], v[84:85] offset0:38 offset1:87
	ds_write2_b64 v55, v[86:87], v[88:89] offset0:136 offset1:185
	ds_write2_b64 v49, v[90:91], v[94:95] offset0:106 offset1:155
	ds_write_b64 v48, v[92:93] offset:4704
.LBB0_9:
	s_or_b64 exec, exec, s[0:1]
	s_waitcnt lgkmcnt(0)
	s_barrier
	s_and_saveexec_b64 s[0:1], s[2:3]
	s_cbranch_execz .LBB0_11
; %bb.10:
	v_add_u32_e32 v16, 0x800, v48
	ds_read2_b64 v[36:39], v48 offset1:49
	ds_read2_b64 v[44:47], v48 offset0:98 offset1:147
	ds_read2_b64 v[40:43], v48 offset0:196 offset1:245
	ds_read2_b64 v[32:35], v16 offset0:38 offset1:87
	ds_read2_b64 v[28:31], v16 offset0:136 offset1:185
	v_add_u32_e32 v16, 0xc00, v48
	ds_read2_b64 v[16:19], v16 offset0:106 offset1:155
	ds_read_b64 v[52:53], v48 offset:4704
.LBB0_11:
	s_or_b64 exec, exec, s[0:1]
	s_waitcnt lgkmcnt(0)
	s_barrier
	s_and_saveexec_b64 s[0:1], s[2:3]
	s_cbranch_execz .LBB0_13
; %bb.12:
	v_pk_add_f32 v[56:57], v[38:39], v[36:37]
	v_lshlrev_b32_e32 v49, 3, v54
	v_pk_add_f32 v[54:55], v[44:45], v[56:57]
	v_pk_add_f32 v[100:101], v[38:39], v[52:53] neg_lo:[0,1] neg_hi:[0,1]
	v_pk_add_f32 v[54:55], v[46:47], v[54:55]
	s_mov_b32 s10, 0xbeedf032
	v_pk_add_f32 v[54:55], v[40:41], v[54:55]
	v_pk_add_f32 v[98:99], v[52:53], v[38:39]
	v_pk_add_f32 v[54:55], v[42:43], v[54:55]
	v_pk_add_f32 v[94:95], v[18:19], v[44:45]
	v_pk_add_f32 v[54:55], v[32:33], v[54:55]
	v_pk_add_f32 v[102:103], v[44:45], v[18:19] neg_lo:[0,1] neg_hi:[0,1]
	v_pk_add_f32 v[54:55], v[34:35], v[54:55]
	s_mov_b32 s16, 0x3f62ad3f
	v_pk_add_f32 v[54:55], v[28:29], v[54:55]
	v_pk_add_f32 v[90:91], v[16:17], v[46:47]
	;; [unrolled: 1-line block ×3, first 2 shown]
	v_pk_add_f32 v[92:93], v[46:47], v[16:17] neg_lo:[0,1] neg_hi:[0,1]
	v_pk_add_f32 v[54:55], v[16:17], v[54:55]
	s_mov_b32 s26, 0xbf52af12
	v_pk_add_f32 v[54:55], v[18:19], v[54:55]
	v_pk_mul_f32 v[18:19], v[100:101], s[10:11] op_sel_hi:[1,0]
	v_pk_add_f32 v[86:87], v[30:31], v[40:41]
	v_pk_fma_f32 v[16:17], v[98:99], s[16:17], v[18:19] op_sel:[0,0,1] op_sel_hi:[1,0,0]
	v_pk_fma_f32 v[18:19], v[98:99], s[16:17], v[18:19] op_sel:[0,0,1] op_sel_hi:[1,0,0] neg_lo:[0,0,1] neg_hi:[0,0,1]
	v_pk_add_f32 v[88:89], v[40:41], v[30:31] neg_lo:[0,1] neg_hi:[0,1]
	v_pk_add_f32 v[82:83], v[28:29], v[42:43]
	v_pk_add_f32 v[84:85], v[42:43], v[28:29] neg_lo:[0,1] neg_hi:[0,1]
	v_mov_b32_e32 v28, v16
	v_mov_b32_e32 v29, v19
	s_mov_b32 s14, 0x3f116cb1
	v_pk_mul_f32 v[30:31], v[102:103], s[26:27] op_sel_hi:[1,0]
	v_pk_add_f32 v[78:79], v[34:35], v[32:33]
	v_pk_add_f32 v[80:81], v[32:33], v[34:35] neg_lo:[0,1] neg_hi:[0,1]
	v_pk_add_f32 v[32:33], v[36:37], v[28:29]
	v_pk_fma_f32 v[28:29], v[94:95], s[14:15], v[30:31] op_sel:[0,0,1] op_sel_hi:[1,0,0]
	v_pk_fma_f32 v[30:31], v[94:95], s[14:15], v[30:31] op_sel:[0,0,1] op_sel_hi:[1,0,0] neg_lo:[0,0,1] neg_hi:[0,0,1]
	v_mov_b32_e32 v34, v28
	v_mov_b32_e32 v35, v31
	s_mov_b32 s36, 0xbf7e222b
	v_pk_add_f32 v[38:39], v[34:35], v[32:33]
	s_mov_b32 s10, 0x3df6dbef
	v_pk_mul_f32 v[34:35], v[92:93], s[36:37] op_sel_hi:[1,0]
	s_mov_b32 s20, 0xbf6f5d39
	v_pk_fma_f32 v[32:33], v[90:91], s[10:11], v[34:35] op_sel:[0,0,1] op_sel_hi:[1,0,0]
	v_pk_fma_f32 v[34:35], v[90:91], s[10:11], v[34:35] op_sel:[0,0,1] op_sel_hi:[1,0,0] neg_lo:[0,0,1] neg_hi:[0,0,1]
	v_mov_b32_e32 v40, v32
	v_mov_b32_e32 v41, v35
	v_pk_add_f32 v[42:43], v[40:41], v[38:39]
	s_mov_b32 s18, 0xbeb58ec6
	v_pk_mul_f32 v[40:41], v[88:89], s[20:21] op_sel_hi:[1,0]
	s_mov_b32 s24, 0xbf29c268
	v_pk_fma_f32 v[38:39], v[86:87], s[18:19], v[40:41] op_sel:[0,0,1] op_sel_hi:[1,0,0]
	v_pk_fma_f32 v[40:41], v[86:87], s[18:19], v[40:41] op_sel:[0,0,1] op_sel_hi:[1,0,0] neg_lo:[0,0,1] neg_hi:[0,0,1]
	v_mov_b32_e32 v44, v38
	v_mov_b32_e32 v45, v41
	v_pk_add_f32 v[46:47], v[44:45], v[42:43]
	s_mov_b32 s22, 0xbf3f9e67
	v_pk_mul_f32 v[44:45], v[84:85], s[24:25] op_sel_hi:[1,0]
	v_pk_add_f32 v[54:55], v[52:53], v[54:55]
	v_pk_fma_f32 v[42:43], v[82:83], s[22:23], v[44:45] op_sel:[0,0,1] op_sel_hi:[1,0,0]
	v_pk_fma_f32 v[44:45], v[82:83], s[22:23], v[44:45] op_sel:[0,0,1] op_sel_hi:[1,0,0] neg_lo:[0,0,1] neg_hi:[0,0,1]
	v_mov_b32_e32 v52, v42
	v_mov_b32_e32 v53, v45
	s_mov_b32 s30, 0xbe750f2a
	v_pk_add_f32 v[56:57], v[52:53], v[46:47]
	s_mov_b32 s28, 0xbf788fa5
	v_pk_mul_f32 v[52:53], v[80:81], s[30:31] op_sel_hi:[1,0]
	v_pk_mul_f32 v[60:61], v[102:103], s[20:21] op_sel_hi:[1,0]
	v_pk_fma_f32 v[46:47], v[78:79], s[28:29], v[52:53] op_sel:[0,0,1] op_sel_hi:[1,0,0]
	v_pk_fma_f32 v[52:53], v[78:79], s[28:29], v[52:53] op_sel:[0,0,1] op_sel_hi:[1,0,0] neg_lo:[0,0,1] neg_hi:[0,0,1]
	v_mov_b32_e32 v58, v46
	v_mov_b32_e32 v59, v53
	v_pk_add_f32 v[56:57], v[58:59], v[56:57]
	ds_write2_b64 v49, v[54:55], v[56:57] offset1:1
	v_pk_mul_f32 v[56:57], v[100:101], s[26:27] op_sel_hi:[1,0]
	s_mov_b32 s40, 0x3f29c268
	v_pk_fma_f32 v[54:55], v[98:99], s[14:15], v[56:57] op_sel:[0,0,1] op_sel_hi:[1,0,0]
	v_pk_fma_f32 v[56:57], v[98:99], s[14:15], v[56:57] op_sel:[0,0,1] op_sel_hi:[1,0,0] neg_lo:[0,0,1] neg_hi:[0,0,1]
	v_mov_b32_e32 v58, v54
	v_mov_b32_e32 v59, v57
	v_pk_add_f32 v[62:63], v[36:37], v[58:59]
	v_pk_fma_f32 v[58:59], v[94:95], s[18:19], v[60:61] op_sel:[0,0,1] op_sel_hi:[1,0,0]
	v_pk_fma_f32 v[60:61], v[94:95], s[18:19], v[60:61] op_sel:[0,0,1] op_sel_hi:[1,0,0] neg_lo:[0,0,1] neg_hi:[0,0,1]
	v_mov_b32_e32 v64, v58
	v_mov_b32_e32 v65, v61
	v_pk_add_f32 v[66:67], v[64:65], v[62:63]
	v_pk_mul_f32 v[64:65], v[92:93], s[30:31] op_sel_hi:[1,0]
	s_mov_b32 s34, 0x3f7e222b
	v_pk_fma_f32 v[62:63], v[90:91], s[28:29], v[64:65] op_sel:[0,0,1] op_sel_hi:[1,0,0]
	v_pk_fma_f32 v[64:65], v[90:91], s[28:29], v[64:65] op_sel:[0,0,1] op_sel_hi:[1,0,0] neg_lo:[0,0,1] neg_hi:[0,0,1]
	v_mov_b32_e32 v68, v62
	v_mov_b32_e32 v69, v65
	v_pk_add_f32 v[70:71], v[68:69], v[66:67]
	v_pk_mul_f32 v[68:69], v[88:89], s[40:41] op_sel_hi:[1,0]
	s_mov_b32 s38, 0x3eedf032
	v_pk_fma_f32 v[66:67], v[86:87], s[22:23], v[68:69] op_sel:[0,0,1] op_sel_hi:[1,0,0]
	v_pk_fma_f32 v[68:69], v[86:87], s[22:23], v[68:69] op_sel:[0,0,1] op_sel_hi:[1,0,0] neg_lo:[0,0,1] neg_hi:[0,0,1]
	v_mov_b32_e32 v72, v66
	v_mov_b32_e32 v73, v69
	v_pk_add_f32 v[74:75], v[72:73], v[70:71]
	v_pk_mul_f32 v[72:73], v[84:85], s[34:35] op_sel_hi:[1,0]
	v_pk_mul_f32 v[112:113], v[102:103], s[30:31] op_sel_hi:[1,0]
	v_pk_fma_f32 v[70:71], v[82:83], s[10:11], v[72:73] op_sel:[0,0,1] op_sel_hi:[1,0,0]
	v_pk_fma_f32 v[72:73], v[82:83], s[10:11], v[72:73] op_sel:[0,0,1] op_sel_hi:[1,0,0] neg_lo:[0,0,1] neg_hi:[0,0,1]
	v_mov_b32_e32 v76, v70
	v_mov_b32_e32 v77, v73
	v_pk_add_f32 v[104:105], v[76:77], v[74:75]
	v_pk_mul_f32 v[76:77], v[80:81], s[38:39] op_sel_hi:[1,0]
	v_pk_fma_f32 v[114:115], v[94:95], s[28:29], v[112:113] op_sel:[0,0,1] op_sel_hi:[1,0,0]
	v_pk_fma_f32 v[74:75], v[78:79], s[16:17], v[76:77] op_sel:[0,0,1] op_sel_hi:[1,0,0]
	v_pk_fma_f32 v[76:77], v[78:79], s[16:17], v[76:77] op_sel:[0,0,1] op_sel_hi:[1,0,0] neg_lo:[0,0,1] neg_hi:[0,0,1]
	v_mov_b32_e32 v106, v74
	v_mov_b32_e32 v107, v77
	v_pk_add_f32 v[104:105], v[106:107], v[104:105]
	v_pk_mul_f32 v[106:107], v[100:101], s[36:37] op_sel_hi:[1,0]
	v_pk_fma_f32 v[112:113], v[94:95], s[28:29], v[112:113] op_sel:[0,0,1] op_sel_hi:[1,0,0] neg_lo:[0,0,1] neg_hi:[0,0,1]
	v_pk_fma_f32 v[108:109], v[98:99], s[10:11], v[106:107] op_sel:[0,0,1] op_sel_hi:[1,0,0]
	v_pk_fma_f32 v[106:107], v[98:99], s[10:11], v[106:107] op_sel:[0,0,1] op_sel_hi:[1,0,0] neg_lo:[0,0,1] neg_hi:[0,0,1]
	v_mov_b32_e32 v110, v108
	v_mov_b32_e32 v111, v107
	v_pk_add_f32 v[110:111], v[36:37], v[110:111]
	v_mov_b32_e32 v116, v114
	v_mov_b32_e32 v117, v113
	s_mov_b32 s42, 0x3f6f5d39
	v_pk_add_f32 v[110:111], v[116:117], v[110:111]
	v_pk_mul_f32 v[116:117], v[92:93], s[42:43] op_sel_hi:[1,0]
	v_pk_mul_f32 v[134:135], v[102:103], s[40:41] op_sel_hi:[1,0]
	v_pk_fma_f32 v[118:119], v[90:91], s[18:19], v[116:117] op_sel:[0,0,1] op_sel_hi:[1,0,0]
	v_pk_fma_f32 v[116:117], v[90:91], s[18:19], v[116:117] op_sel:[0,0,1] op_sel_hi:[1,0,0] neg_lo:[0,0,1] neg_hi:[0,0,1]
	v_mov_b32_e32 v120, v118
	v_mov_b32_e32 v121, v117
	v_pk_add_f32 v[110:111], v[120:121], v[110:111]
	v_pk_mul_f32 v[120:121], v[88:89], s[38:39] op_sel_hi:[1,0]
	v_pk_fma_f32 v[136:137], v[94:95], s[22:23], v[134:135] op_sel:[0,0,1] op_sel_hi:[1,0,0]
	v_pk_fma_f32 v[122:123], v[86:87], s[16:17], v[120:121] op_sel:[0,0,1] op_sel_hi:[1,0,0]
	v_pk_fma_f32 v[120:121], v[86:87], s[16:17], v[120:121] op_sel:[0,0,1] op_sel_hi:[1,0,0] neg_lo:[0,0,1] neg_hi:[0,0,1]
	v_mov_b32_e32 v124, v122
	v_mov_b32_e32 v125, v121
	v_pk_add_f32 v[110:111], v[124:125], v[110:111]
	v_pk_mul_f32 v[124:125], v[84:85], s[26:27] op_sel_hi:[1,0]
	v_pk_fma_f32 v[134:135], v[94:95], s[22:23], v[134:135] op_sel:[0,0,1] op_sel_hi:[1,0,0] neg_lo:[0,0,1] neg_hi:[0,0,1]
	v_pk_fma_f32 v[126:127], v[82:83], s[14:15], v[124:125] op_sel:[0,0,1] op_sel_hi:[1,0,0]
	v_pk_fma_f32 v[124:125], v[82:83], s[14:15], v[124:125] op_sel:[0,0,1] op_sel_hi:[1,0,0] neg_lo:[0,0,1] neg_hi:[0,0,1]
	v_mov_b32_e32 v128, v126
	v_mov_b32_e32 v129, v125
	v_pk_add_f32 v[110:111], v[128:129], v[110:111]
	v_pk_mul_f32 v[128:129], v[80:81], s[24:25] op_sel_hi:[1,0]
	v_mov_b32_e32 v138, v136
	v_pk_fma_f32 v[130:131], v[78:79], s[22:23], v[128:129] op_sel:[0,0,1] op_sel_hi:[1,0,0]
	v_pk_fma_f32 v[128:129], v[78:79], s[22:23], v[128:129] op_sel:[0,0,1] op_sel_hi:[1,0,0] neg_lo:[0,0,1] neg_hi:[0,0,1]
	v_mov_b32_e32 v132, v130
	v_mov_b32_e32 v133, v129
	v_pk_add_f32 v[110:111], v[132:133], v[110:111]
	ds_write2_b64 v49, v[104:105], v[110:111] offset0:2 offset1:3
	v_pk_mul_f32 v[104:105], v[100:101], s[20:21] op_sel_hi:[1,0]
	v_mov_b32_e32 v139, v135
	v_pk_fma_f32 v[110:111], v[98:99], s[18:19], v[104:105] op_sel:[0,0,1] op_sel_hi:[1,0,0]
	v_pk_fma_f32 v[104:105], v[98:99], s[18:19], v[104:105] op_sel:[0,0,1] op_sel_hi:[1,0,0] neg_lo:[0,0,1] neg_hi:[0,0,1]
	v_mov_b32_e32 v132, v110
	v_mov_b32_e32 v133, v105
	v_pk_add_f32 v[132:133], v[36:37], v[132:133]
	s_mov_b32 s40, 0x3f52af12
	v_pk_add_f32 v[132:133], v[138:139], v[132:133]
	v_pk_mul_f32 v[138:139], v[92:93], s[38:39] op_sel_hi:[1,0]
	v_pk_mul_f32 v[160:161], v[102:103], s[34:35] op_sel_hi:[1,0]
	v_pk_fma_f32 v[140:141], v[90:91], s[16:17], v[138:139] op_sel:[0,0,1] op_sel_hi:[1,0,0]
	v_pk_fma_f32 v[138:139], v[90:91], s[16:17], v[138:139] op_sel:[0,0,1] op_sel_hi:[1,0,0] neg_lo:[0,0,1] neg_hi:[0,0,1]
	v_mov_b32_e32 v142, v140
	v_mov_b32_e32 v143, v139
	v_pk_add_f32 v[132:133], v[142:143], v[132:133]
	v_pk_mul_f32 v[142:143], v[88:89], s[36:37] op_sel_hi:[1,0]
	s_mov_b32 s36, 0x3e750f2a
	v_pk_fma_f32 v[144:145], v[86:87], s[10:11], v[142:143] op_sel:[0,0,1] op_sel_hi:[1,0,0]
	v_pk_fma_f32 v[142:143], v[86:87], s[10:11], v[142:143] op_sel:[0,0,1] op_sel_hi:[1,0,0] neg_lo:[0,0,1] neg_hi:[0,0,1]
	v_mov_b32_e32 v146, v144
	v_mov_b32_e32 v147, v143
	v_pk_add_f32 v[132:133], v[146:147], v[132:133]
	v_pk_mul_f32 v[146:147], v[84:85], s[36:37] op_sel_hi:[1,0]
	v_pk_fma_f32 v[162:163], v[94:95], s[10:11], v[160:161] op_sel:[0,0,1] op_sel_hi:[1,0,0]
	v_pk_fma_f32 v[148:149], v[82:83], s[28:29], v[146:147] op_sel:[0,0,1] op_sel_hi:[1,0,0]
	v_pk_fma_f32 v[146:147], v[82:83], s[28:29], v[146:147] op_sel:[0,0,1] op_sel_hi:[1,0,0] neg_lo:[0,0,1] neg_hi:[0,0,1]
	v_mov_b32_e32 v150, v148
	v_mov_b32_e32 v151, v147
	v_pk_add_f32 v[132:133], v[150:151], v[132:133]
	v_pk_mul_f32 v[150:151], v[80:81], s[40:41] op_sel_hi:[1,0]
	v_pk_fma_f32 v[160:161], v[94:95], s[10:11], v[160:161] op_sel:[0,0,1] op_sel_hi:[1,0,0] neg_lo:[0,0,1] neg_hi:[0,0,1]
	v_pk_fma_f32 v[152:153], v[78:79], s[14:15], v[150:151] op_sel:[0,0,1] op_sel_hi:[1,0,0]
	v_pk_fma_f32 v[150:151], v[78:79], s[14:15], v[150:151] op_sel:[0,0,1] op_sel_hi:[1,0,0] neg_lo:[0,0,1] neg_hi:[0,0,1]
	v_mov_b32_e32 v154, v152
	v_mov_b32_e32 v155, v151
	v_pk_add_f32 v[132:133], v[154:155], v[132:133]
	v_pk_mul_f32 v[154:155], v[100:101], s[24:25] op_sel_hi:[1,0]
	v_mov_b32_e32 v164, v162
	v_pk_fma_f32 v[156:157], v[98:99], s[22:23], v[154:155] op_sel:[0,0,1] op_sel_hi:[1,0,0]
	v_pk_fma_f32 v[154:155], v[98:99], s[22:23], v[154:155] op_sel:[0,0,1] op_sel_hi:[1,0,0] neg_lo:[0,0,1] neg_hi:[0,0,1]
	v_mov_b32_e32 v158, v156
	v_mov_b32_e32 v159, v155
	v_pk_add_f32 v[158:159], v[36:37], v[158:159]
	v_mov_b32_e32 v165, v161
	v_pk_add_f32 v[158:159], v[164:165], v[158:159]
	v_pk_mul_f32 v[164:165], v[92:93], s[26:27] op_sel_hi:[1,0]
	v_pk_mul_f32 v[100:101], v[100:101], s[30:31] op_sel_hi:[1,0]
	v_pk_fma_f32 v[166:167], v[90:91], s[14:15], v[164:165] op_sel:[0,0,1] op_sel_hi:[1,0,0]
	v_pk_fma_f32 v[164:165], v[90:91], s[14:15], v[164:165] op_sel:[0,0,1] op_sel_hi:[1,0,0] neg_lo:[0,0,1] neg_hi:[0,0,1]
	v_mov_b32_e32 v168, v166
	v_mov_b32_e32 v169, v165
	v_pk_add_f32 v[158:159], v[168:169], v[158:159]
	v_pk_mul_f32 v[168:169], v[88:89], s[36:37] op_sel_hi:[1,0]
	v_pk_mul_f32 v[92:93], v[92:93], s[24:25] op_sel_hi:[1,0]
	v_pk_fma_f32 v[170:171], v[86:87], s[28:29], v[168:169] op_sel:[0,0,1] op_sel_hi:[1,0,0]
	v_pk_fma_f32 v[168:169], v[86:87], s[28:29], v[168:169] op_sel:[0,0,1] op_sel_hi:[1,0,0] neg_lo:[0,0,1] neg_hi:[0,0,1]
	v_mov_b32_e32 v172, v170
	;; [unrolled: 7-line block ×4, first 2 shown]
	v_mov_b32_e32 v181, v177
	v_pk_add_f32 v[158:159], v[180:181], v[158:159]
	ds_write2_b64 v49, v[132:133], v[158:159] offset0:4 offset1:5
	v_pk_fma_f32 v[132:133], v[98:99], s[28:29], v[100:101] op_sel:[0,0,1] op_sel_hi:[1,0,0]
	v_pk_fma_f32 v[98:99], v[98:99], s[28:29], v[100:101] op_sel:[0,0,1] op_sel_hi:[1,0,0] neg_lo:[0,0,1] neg_hi:[0,0,1]
	v_pk_mul_f32 v[100:101], v[102:103], s[38:39] op_sel_hi:[1,0]
	v_pk_mul_f32 v[80:81], v[80:81], s[34:35] op_sel_hi:[1,0]
	v_pk_fma_f32 v[102:103], v[94:95], s[16:17], v[100:101] op_sel:[0,0,1] op_sel_hi:[1,0,0]
	v_pk_fma_f32 v[94:95], v[94:95], s[16:17], v[100:101] op_sel:[0,0,1] op_sel_hi:[1,0,0] neg_lo:[0,0,1] neg_hi:[0,0,1]
	v_mov_b32_e32 v100, v132
	v_mov_b32_e32 v101, v99
	v_pk_add_f32 v[100:101], v[36:37], v[100:101]
	v_mov_b32_e32 v158, v102
	v_mov_b32_e32 v159, v95
	v_pk_add_f32 v[100:101], v[158:159], v[100:101]
	v_pk_fma_f32 v[158:159], v[90:91], s[22:23], v[92:93] op_sel:[0,0,1] op_sel_hi:[1,0,0]
	v_pk_fma_f32 v[90:91], v[90:91], s[22:23], v[92:93] op_sel:[0,0,1] op_sel_hi:[1,0,0] neg_lo:[0,0,1] neg_hi:[0,0,1]
	v_mov_b32_e32 v92, v158
	v_mov_b32_e32 v93, v91
	v_pk_add_f32 v[92:93], v[92:93], v[100:101]
	v_pk_fma_f32 v[100:101], v[86:87], s[14:15], v[88:89] op_sel:[0,0,1] op_sel_hi:[1,0,0]
	v_pk_fma_f32 v[86:87], v[86:87], s[14:15], v[88:89] op_sel:[0,0,1] op_sel_hi:[1,0,0] neg_lo:[0,0,1] neg_hi:[0,0,1]
	;; [unrolled: 5-line block ×4, first 2 shown]
	v_mov_b32_e32 v80, v88
	v_mov_b32_e32 v81, v79
	;; [unrolled: 1-line block ×3, first 2 shown]
	v_pk_add_f32 v[80:81], v[80:81], v[84:85]
	v_mov_b32_e32 v95, v103
	v_pk_add_f32 v[84:85], v[36:37], v[98:99]
	v_mov_b32_e32 v91, v159
	;; [unrolled: 2-line block ×7, first 2 shown]
	ds_write2_b64 v49, v[80:81], v[78:79] offset0:6 offset1:7
	v_pk_add_f32 v[78:79], v[36:37], v[154:155]
	v_mov_b32_e32 v161, v163
	v_pk_add_f32 v[80:81], v[36:37], v[104:105]
	v_mov_b32_e32 v135, v137
	;; [unrolled: 2-line block ×10, first 2 shown]
	v_pk_add_f32 v[78:79], v[176:177], v[78:79]
	v_pk_add_f32 v[80:81], v[150:151], v[80:81]
	v_mov_b32_e32 v107, v109
	v_mov_b32_e32 v57, v55
	v_mov_b32_e32 v19, v17
	ds_write2_b64 v49, v[78:79], v[80:81] offset0:8 offset1:9
	v_pk_add_f32 v[78:79], v[36:37], v[106:107]
	v_mov_b32_e32 v113, v115
	v_pk_add_f32 v[54:55], v[36:37], v[56:57]
	v_mov_b32_e32 v61, v59
	;; [unrolled: 2-line block ×15, first 2 shown]
	v_pk_add_f32 v[78:79], v[128:129], v[78:79]
	v_pk_add_f32 v[54:55], v[76:77], v[54:55]
	;; [unrolled: 1-line block ×3, first 2 shown]
	ds_write2_b64 v49, v[78:79], v[54:55] offset0:10 offset1:11
	ds_write_b64 v49, v[16:17] offset:96
.LBB0_13:
	s_or_b64 exec, exec, s[0:1]
	v_add_u32_e32 v17, 0x400, v48
	s_waitcnt lgkmcnt(0)
	s_barrier
	ds_read2_b64 v[28:31], v17 offset0:54 offset1:145
	ds_read2_b64 v[32:35], v48 offset1:91
	v_add_u32_e32 v16, 0x800, v48
	ds_read2_b64 v[36:39], v16 offset0:108 offset1:199
	ds_read_b64 v[18:19], v48 offset:4368
	v_mov_b32_e32 v42, v9
	s_waitcnt lgkmcnt(3)
	v_pk_mul_f32 v[44:45], v[8:9], v[30:31] op_sel:[0,1] op_sel_hi:[1,0]
	v_pk_mul_f32 v[40:41], v[8:9], v[30:31]
	v_mov_b32_e32 v44, v45
	s_waitcnt lgkmcnt(1)
	v_pk_mul_f32 v[46:47], v[10:11], v[36:37] op_sel:[0,1] op_sel_hi:[1,0]
	v_pk_fma_f32 v[8:9], v[8:9], v[30:31], v[44:45] op_sel:[0,1,0] op_sel_hi:[1,0,1] neg_lo:[0,0,1] neg_hi:[0,0,1]
	v_mov_b32_e32 v44, v11
	v_mov_b32_e32 v46, v47
	v_pk_mul_f32 v[42:43], v[42:43], v[30:31] op_sel:[0,1] op_sel_hi:[1,0]
	v_pk_mul_f32 v[30:31], v[10:11], v[36:37]
	v_pk_mul_f32 v[44:45], v[44:45], v[36:37] op_sel:[0,1] op_sel_hi:[1,0]
	v_pk_fma_f32 v[10:11], v[10:11], v[36:37], v[46:47] op_sel:[0,1,0] op_sel_hi:[1,0,1] neg_lo:[0,0,1] neg_hi:[0,0,1]
	v_mov_b32_e32 v36, v35
	v_pk_mul_f32 v[46:47], v[4:5], v[34:35] op_sel_hi:[1,0]
	s_mov_b32 s16, 0x3f08b237
	v_pk_fma_f32 v[36:37], v[4:5], v[36:37], v[46:47] op_sel:[0,0,1] op_sel_hi:[1,1,0] neg_lo:[0,0,1] neg_hi:[0,0,1]
	v_pk_fma_f32 v[4:5], v[4:5], v[34:35], v[46:47] op_sel:[0,1,1] op_sel_hi:[1,1,0]
	v_pk_mul_f32 v[34:35], v[6:7], v[28:29] op_sel_hi:[1,0]
	v_mov_b32_e32 v4, v29
	v_mov_b32_e32 v37, v5
	v_pk_fma_f32 v[4:5], v[6:7], v[4:5], v[34:35] op_sel:[0,0,1] op_sel_hi:[1,1,0] neg_lo:[0,0,1] neg_hi:[0,0,1]
	v_pk_fma_f32 v[6:7], v[6:7], v[28:29], v[34:35] op_sel:[0,1,1] op_sel_hi:[1,1,0]
	v_pk_mul_f32 v[28:29], v[0:1], v[38:39] op_sel_hi:[1,0]
	v_mov_b32_e32 v6, v39
	v_mov_b32_e32 v5, v7
	v_pk_fma_f32 v[6:7], v[0:1], v[6:7], v[28:29] op_sel:[0,0,1] op_sel_hi:[1,1,0] neg_lo:[0,0,1] neg_hi:[0,0,1]
	v_pk_fma_f32 v[0:1], v[0:1], v[38:39], v[28:29] op_sel:[0,1,1] op_sel_hi:[1,1,0]
	s_waitcnt lgkmcnt(0)
	v_pk_mul_f32 v[28:29], v[2:3], v[18:19] op_sel_hi:[1,0]
	v_mov_b32_e32 v0, v19
	v_mov_b32_e32 v7, v1
	v_pk_fma_f32 v[0:1], v[2:3], v[0:1], v[28:29] op_sel:[0,0,1] op_sel_hi:[1,1,0] neg_lo:[0,0,1] neg_hi:[0,0,1]
	v_pk_fma_f32 v[2:3], v[2:3], v[18:19], v[28:29] op_sel:[0,1,1] op_sel_hi:[1,1,0]
	v_mov_b32_e32 v31, v36
	v_mov_b32_e32 v1, v3
	v_mov_b32_e32 v45, v0
	v_mov_b32_e32 v41, v4
	v_mov_b32_e32 v43, v6
	v_pk_add_f32 v[2:3], v[36:37], v[0:1]
	v_pk_add_f32 v[18:19], v[36:37], v[0:1] neg_lo:[0,1] neg_hi:[0,1]
	v_pk_add_f32 v[28:29], v[4:5], v[6:7]
	v_pk_add_f32 v[34:35], v[4:5], v[6:7] neg_lo:[0,1] neg_hi:[0,1]
	v_pk_add_f32 v[0:1], v[30:31], v[44:45]
	v_pk_add_f32 v[4:5], v[40:41], v[42:43]
	v_mov_b32_e32 v11, v0
	v_mov_b32_e32 v9, v4
	v_pk_add_f32 v[6:7], v[10:11], v[8:9] neg_lo:[0,1] neg_hi:[0,1]
	v_mov_b32_e32 v40, v29
	v_mov_b32_e32 v41, v8
	;; [unrolled: 1-line block ×4, first 2 shown]
	v_pk_add_f32 v[8:9], v[40:41], v[8:9]
	v_pk_add_f32 v[10:11], v[4:5], v[0:1]
	v_mov_b32_e32 v30, v6
	v_mov_b32_e32 v31, v19
	;; [unrolled: 1-line block ×6, first 2 shown]
	s_mov_b32 s22, 0x3d64c772
	v_pk_add_f32 v[30:31], v[30:31], v[36:37] neg_lo:[0,1] neg_hi:[0,1]
	s_mov_b32 s17, 0xbeae86e6
	v_mov_b32_e32 v36, v18
	v_mov_b32_e32 v38, v6
	;; [unrolled: 1-line block ×3, first 2 shown]
	v_pk_add_f32 v[40:41], v[0:1], v[40:41] neg_lo:[0,1] neg_hi:[0,1]
	v_mov_b32_e32 v42, v3
	v_mov_b32_e32 v43, v9
	;; [unrolled: 1-line block ×3, first 2 shown]
	v_pk_add_f32 v[8:9], v[8:9], v[10:11]
	s_mov_b32 s23, 0x3f4a47b2
	v_pk_mul_f32 v[30:31], v[30:31], s[16:17]
	v_pk_add_f32 v[36:37], v[36:37], v[38:39] neg_lo:[0,1] neg_hi:[0,1]
	s_mov_b32 s10, s17
	s_mov_b32 s11, s16
	v_pk_add_f32 v[6:7], v[6:7], v[34:35]
	v_pk_add_f32 v[42:43], v[42:43], v[4:5] neg_lo:[0,1] neg_hi:[0,1]
	v_pk_add_f32 v[10:11], v[32:33], v[8:9]
	s_mov_b32 s20, 0x3f955555
	v_pk_mul_f32 v[32:33], v[40:41], s[22:23]
	s_mov_b32 s24, s23
	s_mov_b32 s25, s22
	v_pk_mul_f32 v[38:39], v[36:37], s[10:11]
	v_pk_add_f32 v[6:7], v[6:7], v[18:19]
	s_mov_b32 s0, 0xbee1c552
	v_pk_mul_f32 v[40:41], v[42:43], s[24:25]
	v_pk_fma_f32 v[8:9], v[8:9], s[20:21], v[10:11] op_sel_hi:[1,0,1] neg_lo:[1,0,0] neg_hi:[1,0,0]
	v_pk_fma_f32 v[42:43], v[42:43], s[24:25], v[32:33]
	v_pk_fma_f32 v[36:37], v[36:37], s[10:11], v[30:31]
	v_pk_add_f32 v[42:43], v[42:43], v[8:9]
	v_pk_fma_f32 v[36:37], v[6:7], s[0:1], v[36:37] op_sel_hi:[1,0,1]
	v_mov_b32_e32 v4, v29
	v_pk_add_f32 v[44:45], v[42:43], v[36:37]
	v_pk_add_f32 v[36:37], v[42:43], v[36:37] neg_lo:[0,1] neg_hi:[0,1]
	v_mov_b32_e32 v42, v44
	v_mov_b32_e32 v43, v37
	;; [unrolled: 1-line block ×3, first 2 shown]
	s_barrier
	ds_write2_b64 v96, v[10:11], v[42:43] offset1:13
	v_pk_add_f32 v[10:11], v[34:35], v[18:19] neg_lo:[0,1] neg_hi:[0,1]
	s_mov_b32 s14, 0xbf5ff5aa
	v_pk_add_f32 v[0:1], v[4:5], v[0:1] neg_lo:[0,1] neg_hi:[0,1]
	s_mov_b32 s18, 0x3f3bfb3b
	v_mov_b32_e32 v2, v40
	v_mov_b32_e32 v3, v33
	;; [unrolled: 1-line block ×6, first 2 shown]
	v_pk_fma_f32 v[2:3], v[0:1], s[18:19], v[2:3] op_sel_hi:[1,0,1] neg_lo:[1,0,1] neg_hi:[1,0,1]
	v_pk_fma_f32 v[4:5], v[10:11], s[14:15], v[4:5] op_sel_hi:[1,0,1] neg_lo:[1,0,1] neg_hi:[1,0,1]
	;; [unrolled: 1-line block ×4, first 2 shown]
	v_pk_add_f32 v[2:3], v[2:3], v[8:9]
	v_pk_fma_f32 v[4:5], v[6:7], s[0:1], v[4:5] op_sel_hi:[1,0,1]
	v_pk_add_f32 v[0:1], v[0:1], v[8:9]
	v_pk_fma_f32 v[6:7], v[6:7], s[0:1], v[10:11] op_sel_hi:[1,0,1]
	v_pk_add_f32 v[18:19], v[2:3], v[4:5]
	v_pk_add_f32 v[2:3], v[2:3], v[4:5] neg_lo:[0,1] neg_hi:[0,1]
	v_pk_add_f32 v[8:9], v[0:1], v[6:7] neg_lo:[0,1] neg_hi:[0,1]
	v_pk_add_f32 v[0:1], v[0:1], v[6:7]
	v_mov_b32_e32 v4, v18
	v_mov_b32_e32 v5, v3
	;; [unrolled: 1-line block ×7, first 2 shown]
	ds_write2_b64 v96, v[4:5], v[6:7] offset0:26 offset1:39
	ds_write2_b64 v96, v[0:1], v[2:3] offset0:52 offset1:65
	ds_write_b64 v96, v[36:37] offset:624
	s_waitcnt lgkmcnt(0)
	s_barrier
	ds_read2_b64 v[0:3], v17 offset0:54 offset1:145
	ds_read2_b64 v[4:7], v48 offset1:91
	ds_read2_b64 v[8:11], v16 offset0:108 offset1:199
	ds_read_b64 v[18:19], v48 offset:4368
	v_mov_b32_e32 v30, v25
	s_waitcnt lgkmcnt(3)
	v_pk_mul_f32 v[32:33], v[24:25], v[2:3] op_sel:[0,1] op_sel_hi:[1,0]
	v_pk_mul_f32 v[28:29], v[24:25], v[2:3]
	v_mov_b32_e32 v32, v33
	s_waitcnt lgkmcnt(1)
	v_pk_mul_f32 v[34:35], v[26:27], v[8:9] op_sel:[0,1] op_sel_hi:[1,0]
	v_pk_mul_f32 v[30:31], v[30:31], v[2:3] op_sel:[0,1] op_sel_hi:[1,0]
	v_pk_fma_f32 v[2:3], v[24:25], v[2:3], v[32:33] op_sel:[0,1,0] op_sel_hi:[1,0,1] neg_lo:[0,0,1] neg_hi:[0,0,1]
	v_mov_b32_e32 v32, v27
	v_mov_b32_e32 v34, v35
	v_pk_mul_f32 v[24:25], v[26:27], v[8:9]
	v_pk_mul_f32 v[32:33], v[32:33], v[8:9] op_sel:[0,1] op_sel_hi:[1,0]
	v_pk_fma_f32 v[8:9], v[26:27], v[8:9], v[34:35] op_sel:[0,1,0] op_sel_hi:[1,0,1] neg_lo:[0,0,1] neg_hi:[0,0,1]
	v_pk_mul_f32 v[34:35], v[20:21], v[6:7] op_sel_hi:[1,0]
	v_mov_b32_e32 v26, v7
	v_pk_fma_f32 v[6:7], v[20:21], v[6:7], v[34:35] op_sel:[0,1,1] op_sel_hi:[1,1,0]
	v_pk_fma_f32 v[26:27], v[20:21], v[26:27], v[34:35] op_sel:[0,0,1] op_sel_hi:[1,1,0] neg_lo:[0,0,1] neg_hi:[0,0,1]
	v_mov_b32_e32 v6, v1
	v_pk_mul_f32 v[20:21], v[22:23], v[0:1] op_sel_hi:[1,0]
	v_mov_b32_e32 v27, v7
	v_pk_fma_f32 v[6:7], v[22:23], v[6:7], v[20:21] op_sel:[0,0,1] op_sel_hi:[1,1,0] neg_lo:[0,0,1] neg_hi:[0,0,1]
	v_pk_fma_f32 v[0:1], v[22:23], v[0:1], v[20:21] op_sel:[0,1,1] op_sel_hi:[1,1,0]
	v_pk_mul_f32 v[20:21], v[12:13], v[10:11] op_sel_hi:[1,0]
	v_mov_b32_e32 v0, v11
	v_pk_fma_f32 v[10:11], v[12:13], v[10:11], v[20:21] op_sel:[0,1,1] op_sel_hi:[1,1,0]
	v_mov_b32_e32 v7, v1
	v_pk_fma_f32 v[0:1], v[12:13], v[0:1], v[20:21] op_sel:[0,0,1] op_sel_hi:[1,1,0] neg_lo:[0,0,1] neg_hi:[0,0,1]
	s_waitcnt lgkmcnt(0)
	v_mov_b32_e32 v10, v19
	v_pk_mul_f32 v[12:13], v[14:15], v[18:19] op_sel_hi:[1,0]
	v_mov_b32_e32 v1, v11
	v_pk_fma_f32 v[10:11], v[14:15], v[10:11], v[12:13] op_sel:[0,0,1] op_sel_hi:[1,1,0] neg_lo:[0,0,1] neg_hi:[0,0,1]
	v_pk_fma_f32 v[12:13], v[14:15], v[18:19], v[12:13] op_sel:[0,1,1] op_sel_hi:[1,1,0]
	v_mov_b32_e32 v25, v26
	v_mov_b32_e32 v11, v13
	v_mov_b32_e32 v33, v10
	v_mov_b32_e32 v29, v6
	v_mov_b32_e32 v31, v0
	v_pk_add_f32 v[12:13], v[26:27], v[10:11]
	v_pk_add_f32 v[14:15], v[26:27], v[10:11] neg_lo:[0,1] neg_hi:[0,1]
	v_pk_add_f32 v[18:19], v[6:7], v[0:1]
	v_pk_add_f32 v[20:21], v[6:7], v[0:1] neg_lo:[0,1] neg_hi:[0,1]
	v_pk_add_f32 v[10:11], v[24:25], v[32:33]
	v_pk_add_f32 v[0:1], v[28:29], v[30:31]
	v_mov_b32_e32 v9, v10
	v_mov_b32_e32 v3, v0
	v_pk_add_f32 v[6:7], v[8:9], v[2:3] neg_lo:[0,1] neg_hi:[0,1]
	v_mov_b32_e32 v28, v19
	v_mov_b32_e32 v29, v2
	;; [unrolled: 1-line block ×4, first 2 shown]
	v_pk_add_f32 v[2:3], v[28:29], v[2:3]
	v_pk_add_f32 v[8:9], v[0:1], v[10:11]
	v_mov_b32_e32 v22, v6
	v_mov_b32_e32 v23, v15
	;; [unrolled: 1-line block ×6, first 2 shown]
	v_pk_add_f32 v[22:23], v[22:23], v[24:25] neg_lo:[0,1] neg_hi:[0,1]
	v_mov_b32_e32 v24, v14
	v_mov_b32_e32 v26, v6
	;; [unrolled: 1-line block ×3, first 2 shown]
	v_pk_add_f32 v[28:29], v[10:11], v[28:29] neg_lo:[0,1] neg_hi:[0,1]
	v_mov_b32_e32 v30, v13
	v_mov_b32_e32 v31, v3
	;; [unrolled: 1-line block ×3, first 2 shown]
	v_pk_add_f32 v[2:3], v[2:3], v[8:9]
	v_pk_mul_f32 v[22:23], v[22:23], s[16:17]
	v_pk_add_f32 v[24:25], v[24:25], v[26:27] neg_lo:[0,1] neg_hi:[0,1]
	v_pk_add_f32 v[6:7], v[6:7], v[20:21]
	v_pk_add_f32 v[30:31], v[30:31], v[0:1] neg_lo:[0,1] neg_hi:[0,1]
	v_pk_add_f32 v[4:5], v[4:5], v[2:3]
	v_pk_mul_f32 v[8:9], v[28:29], s[22:23]
	v_pk_mul_f32 v[26:27], v[24:25], s[10:11]
	v_pk_add_f32 v[6:7], v[6:7], v[14:15]
	v_pk_mul_f32 v[28:29], v[30:31], s[24:25]
	v_pk_fma_f32 v[2:3], v[2:3], s[20:21], v[4:5] op_sel_hi:[1,0,1] neg_lo:[1,0,0] neg_hi:[1,0,0]
	v_pk_fma_f32 v[30:31], v[30:31], s[24:25], v[8:9]
	v_pk_fma_f32 v[24:25], v[24:25], s[10:11], v[22:23]
	v_pk_add_f32 v[30:31], v[30:31], v[2:3]
	v_pk_fma_f32 v[24:25], v[6:7], s[0:1], v[24:25] op_sel_hi:[1,0,1]
	v_mov_b32_e32 v0, v19
	v_pk_add_f32 v[32:33], v[30:31], v[24:25]
	v_pk_add_f32 v[24:25], v[30:31], v[24:25] neg_lo:[0,1] neg_hi:[0,1]
	v_mov_b32_e32 v30, v32
	v_mov_b32_e32 v31, v25
	;; [unrolled: 1-line block ×3, first 2 shown]
	ds_write2_b64 v48, v[4:5], v[30:31] offset1:91
	v_pk_add_f32 v[4:5], v[20:21], v[14:15] neg_lo:[0,1] neg_hi:[0,1]
	v_pk_add_f32 v[0:1], v[0:1], v[10:11] neg_lo:[0,1] neg_hi:[0,1]
	v_mov_b32_e32 v10, v28
	v_mov_b32_e32 v11, v9
	;; [unrolled: 1-line block ×6, first 2 shown]
	v_pk_fma_f32 v[10:11], v[0:1], s[18:19], v[10:11] op_sel_hi:[1,0,1] neg_lo:[1,0,1] neg_hi:[1,0,1]
	v_pk_fma_f32 v[12:13], v[4:5], s[14:15], v[12:13] op_sel_hi:[1,0,1] neg_lo:[1,0,1] neg_hi:[1,0,1]
	;; [unrolled: 1-line block ×4, first 2 shown]
	v_pk_add_f32 v[10:11], v[10:11], v[2:3]
	v_pk_fma_f32 v[12:13], v[6:7], s[0:1], v[12:13] op_sel_hi:[1,0,1]
	v_pk_add_f32 v[0:1], v[0:1], v[2:3]
	v_pk_fma_f32 v[2:3], v[6:7], s[0:1], v[4:5] op_sel_hi:[1,0,1]
	v_pk_add_f32 v[14:15], v[10:11], v[12:13]
	v_pk_add_f32 v[10:11], v[10:11], v[12:13] neg_lo:[0,1] neg_hi:[0,1]
	v_pk_add_f32 v[4:5], v[0:1], v[2:3] neg_lo:[0,1] neg_hi:[0,1]
	v_pk_add_f32 v[0:1], v[0:1], v[2:3]
	v_mov_b32_e32 v12, v14
	v_mov_b32_e32 v13, v11
	;; [unrolled: 1-line block ×7, first 2 shown]
	ds_write2_b64 v17, v[12:13], v[2:3] offset0:54 offset1:145
	ds_write2_b64 v16, v[0:1], v[10:11] offset0:108 offset1:199
	ds_write_b64 v48, v[24:25] offset:4368
	s_waitcnt lgkmcnt(0)
	s_barrier
	s_and_b64 exec, exec, s[2:3]
	s_cbranch_execz .LBB0_15
; %bb.14:
	global_load_dwordx2 v[8:9], v48, s[8:9]
	global_load_dwordx2 v[10:11], v48, s[8:9] offset:392
	global_load_dwordx2 v[12:13], v48, s[8:9] offset:784
	;; [unrolled: 1-line block ×3, first 2 shown]
	ds_read_b64 v[18:19], v48
	global_load_dwordx2 v[22:23], v48, s[8:9] offset:1568
	ds_read2_b64 v[0:3], v48 offset0:49 offset1:98
	ds_read2_b64 v[4:7], v48 offset0:147 offset1:196
	global_load_dwordx2 v[28:29], v48, s[8:9] offset:1960
	global_load_dwordx2 v[30:31], v48, s[8:9] offset:2352
	v_mad_u64_u32 v[24:25], s[0:1], s6, v50, 0
	v_mad_u64_u32 v[26:27], s[2:3], s4, v51, 0
	v_mov_b32_e32 v32, v25
	v_mov_b32_e32 v36, v27
	v_mad_u64_u32 v[32:33], s[6:7], s7, v50, v[32:33]
	v_mad_u64_u32 v[36:37], s[6:7], s5, v51, v[36:37]
	v_mov_b32_e32 v27, v36
	v_mov_b32_e32 v20, s12
	;; [unrolled: 1-line block ×4, first 2 shown]
	v_lshl_add_u64 v[20:21], v[24:25], 3, v[20:21]
	v_mov_b32_e32 v40, 0x188
	v_lshl_add_u64 v[20:21], v[26:27], 3, v[20:21]
	s_mul_i32 s2, s5, 0x188
	v_mad_u64_u32 v[24:25], s[6:7], s4, v40, v[20:21]
	s_mov_b32 s0, 0xf5262dd1
	v_add_u32_e32 v25, s2, v25
	s_mov_b32 s1, 0x3f59b876
	v_mad_u64_u32 v[26:27], s[6:7], s4, v40, v[24:25]
	v_add_u32_e32 v27, s2, v27
	v_mad_u64_u32 v[32:33], s[6:7], s4, v40, v[26:27]
	v_add_u32_e32 v33, s2, v33
	v_mov_b32_e32 v49, 0
	v_lshl_add_u64 v[34:35], s[8:9], 0, v[48:49]
	s_movk_i32 s3, 0x1000
	s_waitcnt vmcnt(6) lgkmcnt(2)
	v_mul_f32_e32 v36, v19, v9
	v_mul_f32_e32 v9, v18, v9
	s_waitcnt vmcnt(4) lgkmcnt(1)
	v_mul_f32_e32 v38, v3, v13
	s_waitcnt vmcnt(3) lgkmcnt(0)
	v_mul_f32_e32 v39, v5, v15
	v_mul_f32_e32 v15, v4, v15
	v_fmac_f32_e32 v39, v4, v14
	v_fma_f32 v41, v14, v5, -v15
	global_load_dwordx2 v[4:5], v48, s[8:9] offset:2744
	v_mul_f32_e32 v13, v2, v13
	v_fmac_f32_e32 v36, v18, v8
	v_fmac_f32_e32 v38, v2, v12
	v_fma_f32 v18, v12, v3, -v13
	v_fma_f32 v8, v8, v19, -v9
	v_cvt_f64_f32_e32 v[12:13], v38
	v_cvt_f64_f32_e32 v[14:15], v18
	;; [unrolled: 1-line block ×3, first 2 shown]
	global_load_dwordx2 v[38:39], v48, s[8:9] offset:3136
	v_mul_f32_e32 v37, v1, v11
	v_mul_f32_e32 v11, v0, v11
	v_fmac_f32_e32 v37, v0, v10
	v_fma_f32 v10, v10, v1, -v11
	v_cvt_f64_f32_e32 v[0:1], v36
	v_cvt_f64_f32_e32 v[2:3], v8
	;; [unrolled: 1-line block ×5, first 2 shown]
	v_mul_f64 v[0:1], v[0:1], s[0:1]
	v_mul_f64 v[2:3], v[2:3], s[0:1]
	;; [unrolled: 1-line block ×8, first 2 shown]
	v_cvt_f32_f64_e32 v0, v[0:1]
	v_cvt_f32_f64_e32 v1, v[2:3]
	;; [unrolled: 1-line block ×8, first 2 shown]
	global_store_dwordx2 v[20:21], v[0:1], off
	global_store_dwordx2 v[24:25], v[2:3], off
	;; [unrolled: 1-line block ×4, first 2 shown]
	global_load_dwordx2 v[8:9], v48, s[8:9] offset:3528
	v_add_co_u32_e32 v14, vcc, s3, v34
	global_load_dwordx2 v[12:13], v48, s[8:9] offset:3920
	s_nop 0
	v_addc_co_u32_e32 v15, vcc, 0, v35, vcc
	global_load_dwordx2 v[18:19], v[14:15], off offset:216
	s_waitcnt vmcnt(11)
	v_mul_f32_e32 v0, v7, v23
	v_fmac_f32_e32 v0, v6, v22
	v_cvt_f64_f32_e32 v[0:1], v0
	v_mul_f64 v[0:1], v[0:1], s[0:1]
	v_cvt_f32_f64_e32 v10, v[0:1]
	v_mul_f32_e32 v0, v6, v23
	v_fma_f32 v0, v22, v7, -v0
	v_cvt_f64_f32_e32 v[0:1], v0
	v_mul_f64 v[0:1], v[0:1], s[0:1]
	v_cvt_f32_f64_e32 v11, v[0:1]
	ds_read2_b64 v[0:3], v17 offset0:117 offset1:166
	v_mad_u64_u32 v[6:7], s[6:7], s4, v40, v[32:33]
	v_add_u32_e32 v7, s2, v7
	global_store_dwordx2 v[6:7], v[10:11], off
	s_waitcnt vmcnt(11) lgkmcnt(0)
	v_mul_f32_e32 v10, v1, v29
	v_fmac_f32_e32 v10, v0, v28
	v_mul_f32_e32 v0, v0, v29
	v_fma_f32 v0, v28, v1, -v0
	v_cvt_f64_f32_e32 v[10:11], v10
	v_cvt_f64_f32_e32 v[0:1], v0
	v_mul_f64 v[10:11], v[10:11], s[0:1]
	v_mul_f64 v[0:1], v[0:1], s[0:1]
	v_cvt_f32_f64_e32 v10, v[10:11]
	v_cvt_f32_f64_e32 v11, v[0:1]
	s_waitcnt vmcnt(10)
	v_mul_f32_e32 v0, v3, v31
	v_fmac_f32_e32 v0, v2, v30
	v_mad_u64_u32 v[6:7], s[6:7], s4, v40, v[6:7]
	v_cvt_f64_f32_e32 v[0:1], v0
	v_add_u32_e32 v7, s2, v7
	v_mul_f64 v[0:1], v[0:1], s[0:1]
	global_store_dwordx2 v[6:7], v[10:11], off
	v_cvt_f32_f64_e32 v10, v[0:1]
	v_mul_f32_e32 v0, v2, v31
	v_fma_f32 v0, v30, v3, -v0
	v_cvt_f64_f32_e32 v[0:1], v0
	v_mul_f64 v[0:1], v[0:1], s[0:1]
	v_cvt_f32_f64_e32 v11, v[0:1]
	ds_read2_b64 v[0:3], v16 offset0:87 offset1:136
	v_mad_u64_u32 v[6:7], s[6:7], s4, v40, v[6:7]
	v_add_u32_e32 v7, s2, v7
	global_store_dwordx2 v[6:7], v[10:11], off
	s_waitcnt vmcnt(11) lgkmcnt(0)
	v_mul_f32_e32 v10, v1, v5
	v_fmac_f32_e32 v10, v0, v4
	v_mul_f32_e32 v0, v0, v5
	v_fma_f32 v0, v4, v1, -v0
	v_cvt_f64_f32_e32 v[10:11], v10
	v_cvt_f64_f32_e32 v[0:1], v0
	v_mul_f64 v[10:11], v[10:11], s[0:1]
	v_mul_f64 v[0:1], v[0:1], s[0:1]
	v_cvt_f32_f64_e32 v10, v[10:11]
	v_cvt_f32_f64_e32 v11, v[0:1]
	s_waitcnt vmcnt(10)
	v_mul_f32_e32 v0, v3, v39
	v_fmac_f32_e32 v0, v2, v38
	v_cvt_f64_f32_e32 v[0:1], v0
	v_mul_f64 v[0:1], v[0:1], s[0:1]
	v_mad_u64_u32 v[4:5], s[6:7], s4, v40, v[6:7]
	v_cvt_f32_f64_e32 v6, v[0:1]
	v_mul_f32_e32 v0, v2, v39
	v_fma_f32 v0, v38, v3, -v0
	v_cvt_f64_f32_e32 v[0:1], v0
	v_mul_f64 v[0:1], v[0:1], s[0:1]
	v_cvt_f32_f64_e32 v7, v[0:1]
	ds_read2_b64 v[0:3], v16 offset0:185 offset1:234
	v_add_u32_e32 v5, s2, v5
	global_store_dwordx2 v[4:5], v[10:11], off
	v_mad_u64_u32 v[4:5], s[6:7], s4, v40, v[4:5]
	v_add_u32_e32 v5, s2, v5
	global_store_dwordx2 v[4:5], v[6:7], off
	s_waitcnt vmcnt(7) lgkmcnt(0)
	v_mul_f32_e32 v6, v1, v9
	v_fmac_f32_e32 v6, v0, v8
	v_mul_f32_e32 v0, v0, v9
	v_fma_f32 v0, v8, v1, -v0
	v_cvt_f64_f32_e32 v[6:7], v6
	v_cvt_f64_f32_e32 v[0:1], v0
	v_mul_f64 v[6:7], v[6:7], s[0:1]
	v_mul_f64 v[0:1], v[0:1], s[0:1]
	v_cvt_f32_f64_e32 v6, v[6:7]
	v_cvt_f32_f64_e32 v7, v[0:1]
	s_waitcnt vmcnt(6)
	v_mul_f32_e32 v0, v3, v13
	v_fmac_f32_e32 v0, v2, v12
	v_mad_u64_u32 v[4:5], s[6:7], s4, v40, v[4:5]
	v_cvt_f64_f32_e32 v[0:1], v0
	v_add_u32_e32 v5, s2, v5
	v_mul_f64 v[0:1], v[0:1], s[0:1]
	global_store_dwordx2 v[4:5], v[6:7], off
	v_cvt_f32_f64_e32 v6, v[0:1]
	v_mul_f32_e32 v0, v2, v13
	v_fma_f32 v0, v12, v3, -v0
	v_cvt_f64_f32_e32 v[0:1], v0
	v_mul_f64 v[0:1], v[0:1], s[0:1]
	v_cvt_f32_f64_e32 v7, v[0:1]
	v_add_u32_e32 v0, 0x1000, v48
	ds_read2_b64 v[0:3], v0 offset0:27 offset1:76
	v_mad_u64_u32 v[4:5], s[6:7], s4, v40, v[4:5]
	v_add_u32_e32 v5, s2, v5
	global_store_dwordx2 v[4:5], v[6:7], off
	s_waitcnt vmcnt(7) lgkmcnt(0)
	v_mul_f32_e32 v6, v1, v19
	v_fmac_f32_e32 v6, v0, v18
	v_mul_f32_e32 v0, v0, v19
	v_fma_f32 v0, v18, v1, -v0
	v_cvt_f64_f32_e32 v[6:7], v6
	v_cvt_f64_f32_e32 v[0:1], v0
	v_mul_f64 v[6:7], v[6:7], s[0:1]
	v_mul_f64 v[0:1], v[0:1], s[0:1]
	v_cvt_f32_f64_e32 v6, v[6:7]
	v_cvt_f32_f64_e32 v7, v[0:1]
	v_mad_u64_u32 v[0:1], s[6:7], s4, v40, v[4:5]
	v_add_u32_e32 v1, s2, v1
	global_store_dwordx2 v[0:1], v[6:7], off
	global_load_dwordx2 v[4:5], v[14:15], off offset:608
	s_waitcnt vmcnt(0)
	v_mul_f32_e32 v6, v3, v5
	v_fmac_f32_e32 v6, v2, v4
	v_mul_f32_e32 v2, v2, v5
	v_fma_f32 v2, v4, v3, -v2
	v_cvt_f64_f32_e32 v[6:7], v6
	v_cvt_f64_f32_e32 v[2:3], v2
	v_mul_f64 v[6:7], v[6:7], s[0:1]
	v_mul_f64 v[2:3], v[2:3], s[0:1]
	v_mad_u64_u32 v[0:1], s[0:1], s4, v40, v[0:1]
	v_cvt_f32_f64_e32 v6, v[6:7]
	v_cvt_f32_f64_e32 v7, v[2:3]
	v_add_u32_e32 v1, s2, v1
	global_store_dwordx2 v[0:1], v[6:7], off
.LBB0_15:
	s_endpgm
	.section	.rodata,"a",@progbits
	.p2align	6, 0x0
	.amdhsa_kernel bluestein_single_back_len637_dim1_sp_op_CI_CI
		.amdhsa_group_segment_fixed_size 5096
		.amdhsa_private_segment_fixed_size 0
		.amdhsa_kernarg_size 104
		.amdhsa_user_sgpr_count 2
		.amdhsa_user_sgpr_dispatch_ptr 0
		.amdhsa_user_sgpr_queue_ptr 0
		.amdhsa_user_sgpr_kernarg_segment_ptr 1
		.amdhsa_user_sgpr_dispatch_id 0
		.amdhsa_user_sgpr_kernarg_preload_length 0
		.amdhsa_user_sgpr_kernarg_preload_offset 0
		.amdhsa_user_sgpr_private_segment_size 0
		.amdhsa_uses_dynamic_stack 0
		.amdhsa_enable_private_segment 0
		.amdhsa_system_sgpr_workgroup_id_x 1
		.amdhsa_system_sgpr_workgroup_id_y 0
		.amdhsa_system_sgpr_workgroup_id_z 0
		.amdhsa_system_sgpr_workgroup_info 0
		.amdhsa_system_vgpr_workitem_id 0
		.amdhsa_next_free_vgpr 190
		.amdhsa_next_free_sgpr 44
		.amdhsa_accum_offset 192
		.amdhsa_reserve_vcc 1
		.amdhsa_float_round_mode_32 0
		.amdhsa_float_round_mode_16_64 0
		.amdhsa_float_denorm_mode_32 3
		.amdhsa_float_denorm_mode_16_64 3
		.amdhsa_dx10_clamp 1
		.amdhsa_ieee_mode 1
		.amdhsa_fp16_overflow 0
		.amdhsa_tg_split 0
		.amdhsa_exception_fp_ieee_invalid_op 0
		.amdhsa_exception_fp_denorm_src 0
		.amdhsa_exception_fp_ieee_div_zero 0
		.amdhsa_exception_fp_ieee_overflow 0
		.amdhsa_exception_fp_ieee_underflow 0
		.amdhsa_exception_fp_ieee_inexact 0
		.amdhsa_exception_int_div_zero 0
	.end_amdhsa_kernel
	.text
.Lfunc_end0:
	.size	bluestein_single_back_len637_dim1_sp_op_CI_CI, .Lfunc_end0-bluestein_single_back_len637_dim1_sp_op_CI_CI
                                        ; -- End function
	.section	.AMDGPU.csdata,"",@progbits
; Kernel info:
; codeLenInByte = 11028
; NumSgprs: 50
; NumVgprs: 190
; NumAgprs: 0
; TotalNumVgprs: 190
; ScratchSize: 0
; MemoryBound: 0
; FloatMode: 240
; IeeeMode: 1
; LDSByteSize: 5096 bytes/workgroup (compile time only)
; SGPRBlocks: 6
; VGPRBlocks: 23
; NumSGPRsForWavesPerEU: 50
; NumVGPRsForWavesPerEU: 190
; AccumOffset: 192
; Occupancy: 2
; WaveLimiterHint : 1
; COMPUTE_PGM_RSRC2:SCRATCH_EN: 0
; COMPUTE_PGM_RSRC2:USER_SGPR: 2
; COMPUTE_PGM_RSRC2:TRAP_HANDLER: 0
; COMPUTE_PGM_RSRC2:TGID_X_EN: 1
; COMPUTE_PGM_RSRC2:TGID_Y_EN: 0
; COMPUTE_PGM_RSRC2:TGID_Z_EN: 0
; COMPUTE_PGM_RSRC2:TIDIG_COMP_CNT: 0
; COMPUTE_PGM_RSRC3_GFX90A:ACCUM_OFFSET: 47
; COMPUTE_PGM_RSRC3_GFX90A:TG_SPLIT: 0
	.text
	.p2alignl 6, 3212836864
	.fill 256, 4, 3212836864
	.type	__hip_cuid_c6468f89f4dddd76,@object ; @__hip_cuid_c6468f89f4dddd76
	.section	.bss,"aw",@nobits
	.globl	__hip_cuid_c6468f89f4dddd76
__hip_cuid_c6468f89f4dddd76:
	.byte	0                               ; 0x0
	.size	__hip_cuid_c6468f89f4dddd76, 1

	.ident	"AMD clang version 19.0.0git (https://github.com/RadeonOpenCompute/llvm-project roc-6.4.0 25133 c7fe45cf4b819c5991fe208aaa96edf142730f1d)"
	.section	".note.GNU-stack","",@progbits
	.addrsig
	.addrsig_sym __hip_cuid_c6468f89f4dddd76
	.amdgpu_metadata
---
amdhsa.kernels:
  - .agpr_count:     0
    .args:
      - .actual_access:  read_only
        .address_space:  global
        .offset:         0
        .size:           8
        .value_kind:     global_buffer
      - .actual_access:  read_only
        .address_space:  global
        .offset:         8
        .size:           8
        .value_kind:     global_buffer
      - .actual_access:  read_only
        .address_space:  global
        .offset:         16
        .size:           8
        .value_kind:     global_buffer
      - .actual_access:  read_only
        .address_space:  global
        .offset:         24
        .size:           8
        .value_kind:     global_buffer
      - .actual_access:  read_only
        .address_space:  global
        .offset:         32
        .size:           8
        .value_kind:     global_buffer
      - .offset:         40
        .size:           8
        .value_kind:     by_value
      - .address_space:  global
        .offset:         48
        .size:           8
        .value_kind:     global_buffer
      - .address_space:  global
        .offset:         56
        .size:           8
        .value_kind:     global_buffer
      - .address_space:  global
        .offset:         64
        .size:           8
        .value_kind:     global_buffer
      - .address_space:  global
        .offset:         72
        .size:           8
        .value_kind:     global_buffer
      - .offset:         80
        .size:           4
        .value_kind:     by_value
      - .address_space:  global
        .offset:         88
        .size:           8
        .value_kind:     global_buffer
      - .address_space:  global
        .offset:         96
        .size:           8
        .value_kind:     global_buffer
    .group_segment_fixed_size: 5096
    .kernarg_segment_align: 8
    .kernarg_segment_size: 104
    .language:       OpenCL C
    .language_version:
      - 2
      - 0
    .max_flat_workgroup_size: 91
    .name:           bluestein_single_back_len637_dim1_sp_op_CI_CI
    .private_segment_fixed_size: 0
    .sgpr_count:     50
    .sgpr_spill_count: 0
    .symbol:         bluestein_single_back_len637_dim1_sp_op_CI_CI.kd
    .uniform_work_group_size: 1
    .uses_dynamic_stack: false
    .vgpr_count:     190
    .vgpr_spill_count: 0
    .wavefront_size: 64
amdhsa.target:   amdgcn-amd-amdhsa--gfx950
amdhsa.version:
  - 1
  - 2
...

	.end_amdgpu_metadata
